;; amdgpu-corpus repo=ROCm/rocFFT kind=compiled arch=gfx950 opt=O3
	.text
	.amdgcn_target "amdgcn-amd-amdhsa--gfx950"
	.amdhsa_code_object_version 6
	.protected	fft_rtc_back_len1440_factors_10_16_3_3_wgs_90_tpt_90_halfLds_dp_op_CI_CI_unitstride_sbrr_R2C_dirReg ; -- Begin function fft_rtc_back_len1440_factors_10_16_3_3_wgs_90_tpt_90_halfLds_dp_op_CI_CI_unitstride_sbrr_R2C_dirReg
	.globl	fft_rtc_back_len1440_factors_10_16_3_3_wgs_90_tpt_90_halfLds_dp_op_CI_CI_unitstride_sbrr_R2C_dirReg
	.p2align	8
	.type	fft_rtc_back_len1440_factors_10_16_3_3_wgs_90_tpt_90_halfLds_dp_op_CI_CI_unitstride_sbrr_R2C_dirReg,@function
fft_rtc_back_len1440_factors_10_16_3_3_wgs_90_tpt_90_halfLds_dp_op_CI_CI_unitstride_sbrr_R2C_dirReg: ; @fft_rtc_back_len1440_factors_10_16_3_3_wgs_90_tpt_90_halfLds_dp_op_CI_CI_unitstride_sbrr_R2C_dirReg
; %bb.0:
	s_load_dwordx4 s[4:7], s[0:1], 0x58
	s_load_dwordx4 s[8:11], s[0:1], 0x0
	;; [unrolled: 1-line block ×3, first 2 shown]
	v_mul_u32_u24_e32 v1, 0x2d9, v0
	v_add_u32_sdwa v6, s2, v1 dst_sel:DWORD dst_unused:UNUSED_PAD src0_sel:DWORD src1_sel:WORD_1
	v_mov_b32_e32 v4, 0
	s_waitcnt lgkmcnt(0)
	v_cmp_lt_u64_e64 s[2:3], s[10:11], 2
	v_mov_b32_e32 v7, v4
	s_and_b64 vcc, exec, s[2:3]
	v_mov_b64_e32 v[2:3], 0
	s_cbranch_vccnz .LBB0_8
; %bb.1:
	s_load_dwordx2 s[2:3], s[0:1], 0x10
	s_add_u32 s16, s14, 8
	s_addc_u32 s17, s15, 0
	s_add_u32 s18, s12, 8
	s_addc_u32 s19, s13, 0
	s_waitcnt lgkmcnt(0)
	s_add_u32 s20, s2, 8
	v_mov_b64_e32 v[2:3], 0
	s_addc_u32 s21, s3, 0
	s_mov_b64 s[22:23], 1
	v_mov_b64_e32 v[72:73], v[2:3]
.LBB0_2:                                ; =>This Inner Loop Header: Depth=1
	s_load_dwordx2 s[24:25], s[20:21], 0x0
                                        ; implicit-def: $vgpr76_vgpr77
	s_waitcnt lgkmcnt(0)
	v_or_b32_e32 v5, s25, v7
	v_cmp_ne_u64_e32 vcc, 0, v[4:5]
	s_and_saveexec_b64 s[2:3], vcc
	s_xor_b64 s[26:27], exec, s[2:3]
	s_cbranch_execz .LBB0_4
; %bb.3:                                ;   in Loop: Header=BB0_2 Depth=1
	v_cvt_f32_u32_e32 v1, s24
	v_cvt_f32_u32_e32 v5, s25
	s_sub_u32 s2, 0, s24
	s_subb_u32 s3, 0, s25
	v_fmac_f32_e32 v1, 0x4f800000, v5
	v_rcp_f32_e32 v1, v1
	s_nop 0
	v_mul_f32_e32 v1, 0x5f7ffffc, v1
	v_mul_f32_e32 v5, 0x2f800000, v1
	v_trunc_f32_e32 v5, v5
	v_fmac_f32_e32 v1, 0xcf800000, v5
	v_cvt_u32_f32_e32 v5, v5
	v_cvt_u32_f32_e32 v1, v1
	v_mul_lo_u32 v8, s2, v5
	v_mul_hi_u32 v10, s2, v1
	v_mul_lo_u32 v9, s3, v1
	v_add_u32_e32 v10, v10, v8
	v_mul_lo_u32 v12, s2, v1
	v_add_u32_e32 v13, v10, v9
	v_mul_hi_u32 v8, v1, v12
	v_mul_hi_u32 v11, v1, v13
	v_mul_lo_u32 v10, v1, v13
	v_mov_b32_e32 v9, v4
	v_lshl_add_u64 v[8:9], v[8:9], 0, v[10:11]
	v_mul_hi_u32 v11, v5, v12
	v_mul_lo_u32 v12, v5, v12
	v_add_co_u32_e32 v8, vcc, v8, v12
	v_mul_hi_u32 v10, v5, v13
	s_nop 0
	v_addc_co_u32_e32 v8, vcc, v9, v11, vcc
	v_mov_b32_e32 v9, v4
	s_nop 0
	v_addc_co_u32_e32 v11, vcc, 0, v10, vcc
	v_mul_lo_u32 v10, v5, v13
	v_lshl_add_u64 v[8:9], v[8:9], 0, v[10:11]
	v_add_co_u32_e32 v1, vcc, v1, v8
	v_mul_lo_u32 v10, s2, v1
	s_nop 0
	v_addc_co_u32_e32 v5, vcc, v5, v9, vcc
	v_mul_lo_u32 v8, s2, v5
	v_mul_hi_u32 v9, s2, v1
	v_add_u32_e32 v8, v9, v8
	v_mul_lo_u32 v9, s3, v1
	v_add_u32_e32 v12, v8, v9
	v_mul_hi_u32 v14, v5, v10
	v_mul_lo_u32 v15, v5, v10
	v_mul_hi_u32 v9, v1, v12
	v_mul_lo_u32 v8, v1, v12
	v_mul_hi_u32 v10, v1, v10
	v_mov_b32_e32 v11, v4
	v_lshl_add_u64 v[8:9], v[10:11], 0, v[8:9]
	v_add_co_u32_e32 v8, vcc, v8, v15
	v_mul_hi_u32 v13, v5, v12
	s_nop 0
	v_addc_co_u32_e32 v8, vcc, v9, v14, vcc
	v_mul_lo_u32 v10, v5, v12
	s_nop 0
	v_addc_co_u32_e32 v11, vcc, 0, v13, vcc
	v_mov_b32_e32 v9, v4
	v_lshl_add_u64 v[8:9], v[8:9], 0, v[10:11]
	v_add_co_u32_e32 v1, vcc, v1, v8
	v_mul_hi_u32 v10, v6, v1
	s_nop 0
	v_addc_co_u32_e32 v5, vcc, v5, v9, vcc
	v_mad_u64_u32 v[8:9], s[2:3], v6, v5, 0
	v_mov_b32_e32 v11, v4
	v_lshl_add_u64 v[8:9], v[10:11], 0, v[8:9]
	v_mad_u64_u32 v[12:13], s[2:3], v7, v1, 0
	v_add_co_u32_e32 v1, vcc, v8, v12
	v_mad_u64_u32 v[10:11], s[2:3], v7, v5, 0
	s_nop 0
	v_addc_co_u32_e32 v8, vcc, v9, v13, vcc
	v_mov_b32_e32 v9, v4
	s_nop 0
	v_addc_co_u32_e32 v11, vcc, 0, v11, vcc
	v_lshl_add_u64 v[8:9], v[8:9], 0, v[10:11]
	v_mul_lo_u32 v1, s25, v8
	v_mul_lo_u32 v5, s24, v9
	v_mad_u64_u32 v[10:11], s[2:3], s24, v8, 0
	v_add3_u32 v1, v11, v5, v1
	v_sub_u32_e32 v5, v7, v1
	v_mov_b32_e32 v11, s25
	v_sub_co_u32_e32 v14, vcc, v6, v10
	v_lshl_add_u64 v[12:13], v[8:9], 0, 1
	s_nop 0
	v_subb_co_u32_e64 v5, s[2:3], v5, v11, vcc
	v_subrev_co_u32_e64 v10, s[2:3], s24, v14
	v_subb_co_u32_e32 v1, vcc, v7, v1, vcc
	s_nop 0
	v_subbrev_co_u32_e64 v5, s[2:3], 0, v5, s[2:3]
	v_cmp_le_u32_e64 s[2:3], s25, v5
	v_cmp_le_u32_e32 vcc, s25, v1
	s_nop 0
	v_cndmask_b32_e64 v11, 0, -1, s[2:3]
	v_cmp_le_u32_e64 s[2:3], s24, v10
	s_nop 1
	v_cndmask_b32_e64 v10, 0, -1, s[2:3]
	v_cmp_eq_u32_e64 s[2:3], s25, v5
	s_nop 1
	v_cndmask_b32_e64 v5, v11, v10, s[2:3]
	v_lshl_add_u64 v[10:11], v[8:9], 0, 2
	v_cmp_ne_u32_e64 s[2:3], 0, v5
	s_nop 1
	v_cndmask_b32_e64 v5, v13, v11, s[2:3]
	v_cndmask_b32_e64 v11, 0, -1, vcc
	v_cmp_le_u32_e32 vcc, s24, v14
	s_nop 1
	v_cndmask_b32_e64 v13, 0, -1, vcc
	v_cmp_eq_u32_e32 vcc, s25, v1
	s_nop 1
	v_cndmask_b32_e32 v1, v11, v13, vcc
	v_cmp_ne_u32_e32 vcc, 0, v1
	v_cndmask_b32_e64 v1, v12, v10, s[2:3]
	s_nop 0
	v_cndmask_b32_e32 v77, v9, v5, vcc
	v_cndmask_b32_e32 v76, v8, v1, vcc
.LBB0_4:                                ;   in Loop: Header=BB0_2 Depth=1
	s_andn2_saveexec_b64 s[2:3], s[26:27]
	s_cbranch_execz .LBB0_6
; %bb.5:                                ;   in Loop: Header=BB0_2 Depth=1
	v_cvt_f32_u32_e32 v1, s24
	s_sub_i32 s26, 0, s24
	v_mov_b32_e32 v77, v4
	v_rcp_iflag_f32_e32 v1, v1
	s_nop 0
	v_mul_f32_e32 v1, 0x4f7ffffe, v1
	v_cvt_u32_f32_e32 v1, v1
	v_mul_lo_u32 v5, s26, v1
	v_mul_hi_u32 v5, v1, v5
	v_add_u32_e32 v1, v1, v5
	v_mul_hi_u32 v1, v6, v1
	v_mul_lo_u32 v5, v1, s24
	v_sub_u32_e32 v5, v6, v5
	v_add_u32_e32 v8, 1, v1
	v_subrev_u32_e32 v9, s24, v5
	v_cmp_le_u32_e32 vcc, s24, v5
	s_nop 1
	v_cndmask_b32_e32 v5, v5, v9, vcc
	v_cndmask_b32_e32 v1, v1, v8, vcc
	v_add_u32_e32 v8, 1, v1
	v_cmp_le_u32_e32 vcc, s24, v5
	s_nop 1
	v_cndmask_b32_e32 v76, v1, v8, vcc
.LBB0_6:                                ;   in Loop: Header=BB0_2 Depth=1
	s_or_b64 exec, exec, s[2:3]
	v_mad_u64_u32 v[8:9], s[2:3], v76, s24, 0
	s_load_dwordx2 s[2:3], s[18:19], 0x0
	v_mul_lo_u32 v1, v77, s24
	v_mul_lo_u32 v5, v76, s25
	s_load_dwordx2 s[24:25], s[16:17], 0x0
	s_add_u32 s22, s22, 1
	v_add3_u32 v1, v9, v5, v1
	v_sub_co_u32_e32 v5, vcc, v6, v8
	s_addc_u32 s23, s23, 0
	s_nop 0
	v_subb_co_u32_e32 v1, vcc, v7, v1, vcc
	s_add_u32 s16, s16, 8
	s_waitcnt lgkmcnt(0)
	v_mul_lo_u32 v6, s2, v1
	v_mul_lo_u32 v7, s3, v5
	v_mad_u64_u32 v[2:3], s[2:3], s2, v5, v[2:3]
	s_addc_u32 s17, s17, 0
	v_add3_u32 v3, v7, v3, v6
	v_mul_lo_u32 v1, s24, v1
	v_mul_lo_u32 v6, s25, v5
	v_mad_u64_u32 v[72:73], s[2:3], s24, v5, v[72:73]
	s_add_u32 s18, s18, 8
	v_add3_u32 v73, v6, v73, v1
	s_addc_u32 s19, s19, 0
	v_mov_b64_e32 v[6:7], s[10:11]
	s_add_u32 s20, s20, 8
	v_cmp_ge_u64_e32 vcc, s[22:23], v[6:7]
	s_addc_u32 s21, s21, 0
	s_cbranch_vccnz .LBB0_9
; %bb.7:                                ;   in Loop: Header=BB0_2 Depth=1
	v_mov_b64_e32 v[6:7], v[76:77]
	s_branch .LBB0_2
.LBB0_8:
	v_mov_b64_e32 v[72:73], v[2:3]
	v_mov_b64_e32 v[76:77], v[6:7]
.LBB0_9:
	s_load_dwordx2 s[18:19], s[0:1], 0x28
	s_lshl_b64 s[16:17], s[10:11], 3
	s_add_u32 s2, s14, s16
	s_addc_u32 s3, s15, s17
                                        ; implicit-def: $vgpr74
                                        ; implicit-def: $vgpr78
	s_waitcnt lgkmcnt(0)
	v_cmp_gt_u64_e64 s[0:1], s[18:19], v[76:77]
	v_cmp_le_u64_e32 vcc, s[18:19], v[76:77]
	s_and_saveexec_b64 s[10:11], vcc
	s_xor_b64 s[10:11], exec, s[10:11]
; %bb.10:
	s_mov_b32 s14, 0x2d82d83
	v_mul_hi_u32 v1, v0, s14
	v_mul_u32_u24_e32 v1, 0x5a, v1
	v_sub_u32_e32 v74, v0, v1
	v_add_u32_e32 v78, 0x5a, v74
                                        ; implicit-def: $vgpr0
                                        ; implicit-def: $vgpr2_vgpr3
; %bb.11:
	s_andn2_saveexec_b64 s[10:11], s[10:11]
	s_cbranch_execz .LBB0_13
; %bb.12:
	s_add_u32 s12, s12, s16
	s_addc_u32 s13, s13, s17
	s_load_dwordx2 s[12:13], s[12:13], 0x0
	s_mov_b32 s14, 0x2d82d83
	v_mov_b32_e32 v65, 0
	s_waitcnt lgkmcnt(0)
	v_mul_lo_u32 v1, s13, v76
	v_mul_lo_u32 v6, s12, v77
	v_mad_u64_u32 v[4:5], s[12:13], s12, v76, 0
	v_add3_u32 v5, v5, v6, v1
	v_mul_hi_u32 v1, v0, s14
	v_mul_u32_u24_e32 v1, 0x5a, v1
	v_sub_u32_e32 v74, v0, v1
	v_lshl_add_u64 v[0:1], v[4:5], 4, s[4:5]
	v_lshl_add_u64 v[0:1], v[2:3], 4, v[0:1]
	v_lshlrev_b32_e32 v64, 4, v74
	v_lshl_add_u64 v[56:57], v[0:1], 0, v[64:65]
	s_movk_i32 s4, 0x1000
	v_add_co_u32_e32 v32, vcc, s4, v56
	s_movk_i32 s5, 0x2000
	s_nop 0
	v_addc_co_u32_e32 v33, vcc, 0, v57, vcc
	v_add_co_u32_e32 v48, vcc, s5, v56
	s_movk_i32 s12, 0x3000
	s_nop 0
	v_addc_co_u32_e32 v49, vcc, 0, v57, vcc
	v_add_co_u32_e32 v50, vcc, s12, v56
	global_load_dwordx4 v[0:3], v[56:57], off
	global_load_dwordx4 v[4:7], v[56:57], off offset:1440
	v_addc_co_u32_e32 v51, vcc, 0, v57, vcc
	v_add_co_u32_e32 v66, vcc, 0x4000, v56
	global_load_dwordx4 v[8:11], v[56:57], off offset:2880
	global_load_dwordx4 v[12:15], v[32:33], off offset:224
	global_load_dwordx4 v[16:19], v[32:33], off offset:1664
	global_load_dwordx4 v[20:23], v[32:33], off offset:3104
	global_load_dwordx4 v[24:27], v[48:49], off offset:448
	global_load_dwordx4 v[28:31], v[48:49], off offset:1888
	v_addc_co_u32_e32 v67, vcc, 0, v57, vcc
	v_add_co_u32_e32 v68, vcc, 0x5000, v56
	global_load_dwordx4 v[32:35], v[48:49], off offset:3328
	global_load_dwordx4 v[36:39], v[50:51], off offset:672
	global_load_dwordx4 v[40:43], v[50:51], off offset:2112
	global_load_dwordx4 v[44:47], v[50:51], off offset:3552
	s_nop 0
	global_load_dwordx4 v[48:51], v[66:67], off offset:896
	global_load_dwordx4 v[52:55], v[66:67], off offset:2336
	v_addc_co_u32_e32 v69, vcc, 0, v57, vcc
	global_load_dwordx4 v[56:59], v[66:67], off offset:3776
	global_load_dwordx4 v[60:63], v[68:69], off offset:1120
	v_add_u32_e32 v78, 0x5a, v74
	v_add_u32_e32 v64, 0, v64
	s_waitcnt vmcnt(15)
	ds_write_b128 v64, v[0:3]
	s_waitcnt vmcnt(14)
	ds_write_b128 v64, v[4:7] offset:1440
	s_waitcnt vmcnt(13)
	ds_write_b128 v64, v[8:11] offset:2880
	;; [unrolled: 2-line block ×15, first 2 shown]
.LBB0_13:
	s_or_b64 exec, exec, s[10:11]
	v_lshl_add_u32 v120, v74, 4, 0
	s_load_dwordx2 s[4:5], s[2:3], 0x0
	s_waitcnt lgkmcnt(0)
	s_barrier
	ds_read_b128 v[28:31], v120 offset:2304
	ds_read_b128 v[0:3], v120 offset:3744
	;; [unrolled: 1-line block ×11, first 2 shown]
	ds_read_b128 v[56:59], v120
	ds_read_b128 v[96:99], v120 offset:4608
	ds_read_b128 v[100:103], v120 offset:9216
	;; [unrolled: 1-line block ×3, first 2 shown]
	s_waitcnt lgkmcnt(8)
	v_add_f64 v[32:33], v[8:9], v[48:49]
	v_fma_f64 v[60:61], -0.5, v[32:33], v[28:29]
	s_waitcnt lgkmcnt(6)
	v_add_f64 v[32:33], v[4:5], v[52:53]
	v_add_f64 v[68:69], v[28:29], v[4:5]
	v_fmac_f64_e32 v[28:29], -0.5, v[32:33]
	v_add_f64 v[32:33], v[8:9], -v[4:5]
	v_add_f64 v[34:35], v[48:49], -v[52:53]
	s_waitcnt lgkmcnt(1)
	v_add_f64 v[40:41], v[100:101], v[92:93]
	s_waitcnt lgkmcnt(0)
	v_add_f64 v[108:109], v[96:97], v[104:105]
	v_add_f64 v[66:67], v[32:33], v[34:35]
	;; [unrolled: 1-line block ×3, first 2 shown]
	v_fma_f64 v[116:117], -0.5, v[40:41], v[56:57]
	v_add_f64 v[118:119], v[56:57], v[96:97]
	v_fmac_f64_e32 v[56:57], -0.5, v[108:109]
	v_add_f64 v[108:109], v[100:101], -v[96:97]
	v_add_f64 v[110:111], v[92:93], -v[104:105]
	s_mov_b32 s14, 0x134454ff
	v_fma_f64 v[64:65], -0.5, v[32:33], v[30:31]
	v_add_f64 v[32:33], v[6:7], v[54:55]
	v_add_f64 v[122:123], v[108:109], v[110:111]
	v_add_f64 v[108:109], v[102:103], v[94:95]
	s_mov_b32 s15, 0xbfee6f0e
	s_mov_b32 s16, 0x4755a5e
	;; [unrolled: 1-line block ×4, first 2 shown]
	v_add_f64 v[90:91], v[30:31], v[6:7]
	v_fmac_f64_e32 v[30:31], -0.5, v[32:33]
	v_add_f64 v[70:71], v[8:9], -v[48:49]
	v_fma_f64 v[124:125], -0.5, v[108:109], v[58:59]
	v_add_f64 v[126:127], v[58:59], v[98:99]
	v_add_f64 v[108:109], v[98:99], v[106:107]
	s_mov_b32 s17, 0xbfe2cf23
	s_mov_b32 s12, 0x372fe950
	v_add_f64 v[62:63], v[10:11], -v[50:51]
	v_add_f64 v[32:33], v[10:11], -v[6:7]
	;; [unrolled: 1-line block ×3, first 2 shown]
	v_fma_f64 v[88:89], s[14:15], v[70:71], v[30:31]
	v_fmac_f64_e32 v[30:31], s[2:3], v[70:71]
	v_add_f64 v[82:83], v[4:5], -v[52:53]
	v_fmac_f64_e32 v[58:59], -0.5, v[108:109]
	v_add_f64 v[108:109], v[102:103], -v[98:99]
	v_add_f64 v[130:131], v[102:103], -v[94:95]
	v_add_f64 v[134:135], v[98:99], -v[106:107]
	v_add_f64 v[136:137], v[100:101], -v[92:93]
	v_add_f64 v[140:141], v[96:97], -v[104:105]
	v_add_f64 v[96:97], v[96:97], -v[100:101]
	v_add_f64 v[98:99], v[98:99], -v[102:103]
	v_add_f64 v[100:101], v[118:119], v[100:101]
	v_add_f64 v[102:103], v[126:127], v[102:103]
	s_mov_b32 s13, 0x3fd3c6ef
	s_mov_b32 s11, 0x3fe2cf23
	s_mov_b32 s10, s16
	v_add_f64 v[86:87], v[32:33], v[34:35]
	v_fma_f64 v[84:85], s[2:3], v[62:63], v[28:29]
	v_fmac_f64_e32 v[28:29], s[14:15], v[62:63]
	v_add_f64 v[80:81], v[6:7], -v[54:55]
	v_fmac_f64_e32 v[30:31], s[16:17], v[82:83]
	v_add_f64 v[100:101], v[100:101], v[92:93]
	v_add_f64 v[102:103], v[102:103], v[94:95]
	v_fmac_f64_e32 v[28:29], s[10:11], v[80:81]
	v_fmac_f64_e32 v[30:31], s[12:13], v[86:87]
	s_mov_b32 s19, 0xbfd3c6ef
	s_mov_b32 s18, s12
	v_add_f64 v[110:111], v[94:95], -v[106:107]
	v_add_f64 v[92:93], v[104:105], -v[92:93]
	;; [unrolled: 1-line block ×3, first 2 shown]
	v_add_f64 v[100:101], v[100:101], v[104:105]
	v_add_f64 v[102:103], v[102:103], v[106:107]
	v_add_f64 v[104:105], v[4:5], -v[8:9]
	v_add_f64 v[106:107], v[6:7], -v[10:11]
	v_add_f64 v[4:5], v[68:69], v[8:9]
	v_add_f64 v[6:7], v[90:91], v[10:11]
	v_fmac_f64_e32 v[28:29], s[12:13], v[66:67]
	v_mul_f64 v[112:113], v[30:31], s[14:15]
	v_mul_f64 v[114:115], v[30:31], s[18:19]
	v_add_f64 v[4:5], v[4:5], v[48:49]
	v_add_f64 v[6:7], v[6:7], v[50:51]
	v_add_f64 v[48:49], v[52:53], -v[48:49]
	v_add_f64 v[50:51], v[54:55], -v[50:51]
	v_fmac_f64_e32 v[112:113], s[18:19], v[28:29]
	v_fmac_f64_e32 v[114:115], s[2:3], v[28:29]
	ds_read_b128 v[28:31], v120 offset:10656
	ds_read_b128 v[32:35], v120 offset:15264
	;; [unrolled: 1-line block ×5, first 2 shown]
	v_add_f64 v[90:91], v[96:97], v[92:93]
	v_add_f64 v[92:93], v[98:99], v[94:95]
	;; [unrolled: 1-line block ×4, first 2 shown]
	v_fma_f64 v[48:49], s[14:15], v[80:81], v[60:61]
	v_fma_f64 v[50:51], s[2:3], v[82:83], v[64:65]
	v_fmac_f64_e32 v[64:65], s[14:15], v[82:83]
	v_fmac_f64_e32 v[48:49], s[16:17], v[62:63]
	v_fmac_f64_e32 v[50:51], s[10:11], v[70:71]
	s_mov_b32 s22, 0x9b97f4a8
	v_fmac_f64_e32 v[88:89], s[10:11], v[82:83]
	v_fmac_f64_e32 v[60:61], s[2:3], v[80:81]
	;; [unrolled: 1-line block ×3, first 2 shown]
	v_fma_f64 v[132:133], s[2:3], v[130:131], v[56:57]
	v_fmac_f64_e32 v[56:57], s[14:15], v[130:131]
	v_fma_f64 v[138:139], s[14:15], v[136:137], v[58:59]
	v_fmac_f64_e32 v[58:59], s[2:3], v[136:137]
	v_fmac_f64_e32 v[48:49], s[12:13], v[94:95]
	;; [unrolled: 1-line block ×3, first 2 shown]
	s_mov_b32 s23, 0x3fe9e377
	v_fma_f64 v[68:69], s[14:15], v[134:135], v[116:117]
	v_fma_f64 v[98:99], s[2:3], v[140:141], v[124:125]
	v_fmac_f64_e32 v[84:85], s[16:17], v[80:81]
	v_fmac_f64_e32 v[88:89], s[12:13], v[86:87]
	;; [unrolled: 1-line block ×6, first 2 shown]
	s_mov_b32 s21, 0xbfe9e377
	s_mov_b32 s20, s22
	v_add_f64 v[128:129], v[108:109], v[110:111]
	v_fmac_f64_e32 v[56:57], s[10:11], v[134:135]
	v_fmac_f64_e32 v[58:59], s[16:17], v[140:141]
	v_add_f64 v[8:9], v[4:5], v[52:53]
	v_add_f64 v[10:11], v[6:7], v[54:55]
	v_mul_f64 v[52:53], v[50:51], s[16:17]
	v_mul_f64 v[54:55], v[48:49], s[10:11]
	v_fmac_f64_e32 v[68:69], s[16:17], v[130:131]
	v_fmac_f64_e32 v[98:99], s[10:11], v[136:137]
	;; [unrolled: 1-line block ×5, first 2 shown]
	v_mul_f64 v[86:87], v[88:89], s[14:15]
	v_mul_f64 v[88:89], v[88:89], s[12:13]
	v_fmac_f64_e32 v[116:117], s[10:11], v[130:131]
	v_fmac_f64_e32 v[124:125], s[16:17], v[136:137]
	;; [unrolled: 1-line block ×3, first 2 shown]
	v_mul_f64 v[70:71], v[64:65], s[16:17]
	v_mul_f64 v[64:65], v[64:65], s[20:21]
	s_movk_i32 s24, 0x90
	v_fmac_f64_e32 v[56:57], s[12:13], v[122:123]
	v_fmac_f64_e32 v[58:59], s[12:13], v[128:129]
	v_add_f64 v[4:5], v[100:101], v[8:9]
	v_add_f64 v[6:7], v[102:103], v[10:11]
	v_fmac_f64_e32 v[52:53], s[22:23], v[48:49]
	v_fmac_f64_e32 v[54:55], s[22:23], v[50:51]
	;; [unrolled: 1-line block ×12, first 2 shown]
	v_mad_u32_u24 v75, v74, s24, v120
	v_add_f64 v[108:109], v[56:57], v[112:113]
	v_add_f64 v[110:111], v[58:59], v[114:115]
	v_add_f64 v[8:9], v[100:101], -v[8:9]
	v_add_f64 v[10:11], v[102:103], -v[10:11]
	v_add_f64 v[48:49], v[68:69], v[52:53]
	v_add_f64 v[50:51], v[98:99], v[54:55]
	v_add_f64 v[52:53], v[68:69], -v[52:53]
	v_add_f64 v[54:55], v[98:99], -v[54:55]
	v_add_f64 v[66:67], v[132:133], v[86:87]
	v_add_f64 v[68:69], v[138:139], v[88:89]
	;; [unrolled: 1-line block ×4, first 2 shown]
	s_waitcnt lgkmcnt(0)
	s_barrier
	ds_write_b128 v75, v[4:7]
	ds_write_b128 v75, v[48:51] offset:16
	ds_write_b128 v75, v[66:69] offset:32
	;; [unrolled: 1-line block ×6, first 2 shown]
	v_add_f64 v[4:5], v[40:41], -v[28:29]
	v_add_f64 v[6:7], v[44:45], -v[32:33]
	v_add_f64 v[62:63], v[4:5], v[6:7]
	v_add_f64 v[4:5], v[28:29], -v[40:41]
	v_add_f64 v[6:7], v[32:33], -v[44:45]
	;; [unrolled: 1-line block ×5, first 2 shown]
	v_add_f64 v[64:65], v[4:5], v[6:7]
	v_add_f64 v[4:5], v[42:43], -v[30:31]
	v_add_f64 v[6:7], v[46:47], -v[34:35]
	ds_write_b128 v75, v[84:87] offset:112
	v_add_f64 v[86:87], v[4:5], v[6:7]
	v_add_f64 v[4:5], v[30:31], -v[42:43]
	v_add_f64 v[6:7], v[34:35], -v[46:47]
	v_add_f64 v[68:69], v[4:5], v[6:7]
	v_add_f64 v[4:5], v[12:13], -v[16:17]
	v_add_f64 v[6:7], v[24:25], -v[20:21]
	;; [unrolled: 3-line block ×3, first 2 shown]
	v_add_f64 v[88:89], v[116:117], -v[70:71]
	v_add_f64 v[82:83], v[4:5], v[6:7]
	v_add_f64 v[4:5], v[14:15], -v[18:19]
	v_add_f64 v[6:7], v[26:27], -v[22:23]
	ds_write_b128 v75, v[88:91] offset:144
	v_add_f64 v[88:89], v[4:5], v[6:7]
	v_add_f64 v[4:5], v[18:19], -v[14:15]
	v_add_f64 v[6:7], v[22:23], -v[26:27]
	v_add_f64 v[90:91], v[4:5], v[6:7]
	v_add_f64 v[4:5], v[16:17], v[20:21]
	v_fma_f64 v[106:107], -0.5, v[4:5], v[0:1]
	v_add_f64 v[98:99], v[14:15], -v[26:27]
	v_add_f64 v[6:7], v[18:19], v[22:23]
	v_fma_f64 v[4:5], s[14:15], v[98:99], v[106:107]
	v_add_f64 v[104:105], v[18:19], -v[22:23]
	v_fma_f64 v[100:101], -0.5, v[6:7], v[2:3]
	v_add_f64 v[96:97], v[12:13], -v[24:25]
	v_fmac_f64_e32 v[4:5], s[16:17], v[104:105]
	v_fma_f64 v[6:7], s[2:3], v[96:97], v[100:101]
	v_add_f64 v[102:103], v[16:17], -v[20:21]
	v_fmac_f64_e32 v[4:5], s[12:13], v[80:81]
	v_fmac_f64_e32 v[6:7], s[10:11], v[102:103]
	;; [unrolled: 1-line block ×3, first 2 shown]
	v_mul_f64 v[52:53], v[4:5], s[10:11]
	v_mul_f64 v[48:49], v[6:7], s[16:17]
	v_fmac_f64_e32 v[52:53], s[22:23], v[6:7]
	v_add_f64 v[6:7], v[14:15], v[26:27]
	v_fmac_f64_e32 v[48:49], s[22:23], v[4:5]
	v_add_f64 v[4:5], v[12:13], v[24:25]
	v_fma_f64 v[94:95], -0.5, v[6:7], v[2:3]
	v_fma_f64 v[92:93], -0.5, v[4:5], v[0:1]
	v_fma_f64 v[6:7], s[14:15], v[102:103], v[94:95]
	v_fma_f64 v[4:5], s[2:3], v[104:105], v[92:93]
	v_fmac_f64_e32 v[6:7], s[10:11], v[96:97]
	v_add_f64 v[56:57], v[56:57], -v[112:113]
	v_add_f64 v[58:59], v[58:59], -v[114:115]
	v_fmac_f64_e32 v[4:5], s[16:17], v[98:99]
	v_fmac_f64_e32 v[6:7], s[12:13], v[90:91]
	ds_write_b128 v75, v[56:59] offset:128
	v_fmac_f64_e32 v[4:5], s[12:13], v[82:83]
	v_mul_f64 v[50:51], v[6:7], s[14:15]
	v_mul_f64 v[58:59], v[6:7], s[12:13]
	v_fmac_f64_e32 v[50:51], s[12:13], v[4:5]
	v_fmac_f64_e32 v[58:59], s[2:3], v[4:5]
	v_add_f64 v[4:5], v[28:29], v[32:33]
	v_fma_f64 v[84:85], -0.5, v[4:5], v[36:37]
	v_add_f64 v[4:5], v[40:41], v[44:45]
	v_fma_f64 v[70:71], -0.5, v[4:5], v[36:37]
	;; [unrolled: 2-line block ×3, first 2 shown]
	v_add_f64 v[4:5], v[42:43], v[46:47]
	v_add_f64 v[110:111], v[42:43], -v[46:47]
	v_add_f64 v[112:113], v[30:31], -v[34:35]
	;; [unrolled: 1-line block ×4, first 2 shown]
	v_fma_f64 v[108:109], -0.5, v[4:5], v[38:39]
	v_fma_f64 v[54:55], s[14:15], v[110:111], v[84:85]
	v_fma_f64 v[56:57], s[2:3], v[112:113], v[70:71]
	;; [unrolled: 1-line block ×4, first 2 shown]
	v_fmac_f64_e32 v[54:55], s[16:17], v[112:113]
	v_fmac_f64_e32 v[56:57], s[16:17], v[110:111]
	;; [unrolled: 1-line block ×8, first 2 shown]
	v_add_f64 v[4:5], v[54:55], -v[48:49]
	v_add_f64 v[6:7], v[60:61], -v[52:53]
	;; [unrolled: 1-line block ×4, first 2 shown]
	v_cmp_gt_u32_e32 vcc, 54, v74
	s_and_saveexec_b64 s[14:15], vcc
	s_cbranch_execz .LBB0_15
; %bb.14:
	v_mul_f64 v[122:123], v[114:115], s[2:3]
	v_add_f64 v[118:119], v[118:119], -v[122:123]
	v_mul_f64 v[122:123], v[116:117], s[10:11]
	v_add_f64 v[118:119], v[118:119], -v[122:123]
	v_mul_f64 v[86:87], v[86:87], s[12:13]
	v_add_f64 v[86:87], v[86:87], v[118:119]
	v_mul_f64 v[118:119], v[98:99], s[2:3]
	v_add_f64 v[106:107], v[106:107], v[118:119]
	;; [unrolled: 2-line block ×4, first 2 shown]
	v_mul_f64 v[106:107], v[96:97], s[2:3]
	v_mul_f64 v[122:123], v[110:111], s[2:3]
	v_mul_f64 v[104:105], v[104:105], s[2:3]
	v_add_f64 v[100:101], v[100:101], -v[106:107]
	v_mul_f64 v[106:107], v[102:103], s[10:11]
	v_mul_f64 v[118:119], v[112:113], s[10:11]
	;; [unrolled: 1-line block ×4, first 2 shown]
	v_add_f64 v[100:101], v[100:101], -v[106:107]
	v_add_f64 v[92:93], v[92:93], -v[104:105]
	v_add_f64 v[2:3], v[2:3], v[14:15]
	v_add_f64 v[14:15], v[84:85], v[122:123]
	v_mul_f64 v[62:63], v[62:63], s[12:13]
	v_mul_f64 v[82:83], v[82:83], s[12:13]
	;; [unrolled: 1-line block ×3, first 2 shown]
	v_add_f64 v[88:89], v[88:89], v[100:101]
	v_add_f64 v[92:93], v[98:99], v[92:93]
	v_add_f64 v[38:39], v[38:39], v[42:43]
	v_add_f64 v[14:15], v[118:119], v[14:15]
	v_mul_f64 v[112:113], v[112:113], s[2:3]
	v_mul_f64 v[96:97], v[96:97], s[10:11]
	v_add_f64 v[92:93], v[82:83], v[92:93]
	v_add_f64 v[82:83], v[102:103], v[94:95]
	;; [unrolled: 1-line block ×4, first 2 shown]
	v_mul_f64 v[14:15], v[88:89], s[10:11]
	v_mul_f64 v[110:111], v[110:111], s[10:11]
	;; [unrolled: 1-line block ×3, first 2 shown]
	v_add_f64 v[82:83], v[82:83], -v[96:97]
	v_fma_f64 v[42:43], v[80:81], s[20:21], -v[14:15]
	v_add_f64 v[14:15], v[70:71], -v[112:113]
	v_mul_f64 v[124:125], v[64:65], s[12:13]
	v_add_f64 v[90:91], v[90:91], v[82:83]
	v_add_f64 v[30:31], v[30:31], v[34:35]
	;; [unrolled: 1-line block ×5, first 2 shown]
	v_mul_f64 v[14:15], v[90:91], s[2:3]
	v_fma_f64 v[70:71], v[92:93], s[18:19], -v[14:15]
	v_add_f64 v[14:15], v[36:37], v[40:41]
	v_add_f64 v[0:1], v[0:1], v[12:13]
	;; [unrolled: 1-line block ×4, first 2 shown]
	v_mul_f64 v[64:65], v[116:117], s[2:3]
	v_add_f64 v[2:3], v[2:3], v[18:19]
	v_add_f64 v[14:15], v[14:15], v[32:33]
	;; [unrolled: 1-line block ×3, first 2 shown]
	v_mul_f64 v[114:115], v[114:115], s[10:11]
	v_add_f64 v[106:107], v[64:65], v[108:109]
	v_add_f64 v[2:3], v[2:3], v[22:23]
	;; [unrolled: 1-line block ×4, first 2 shown]
	v_mul_f64 v[68:69], v[68:69], s[12:13]
	v_mul_f64 v[100:101], v[88:89], s[20:21]
	v_add_f64 v[106:107], v[106:107], -v[114:115]
	v_mul_f64 v[94:95], v[90:91], s[18:19]
	v_add_f64 v[34:35], v[2:3], v[26:27]
	v_add_f64 v[0:1], v[28:29], -v[32:33]
	v_add_f64 v[28:29], v[28:29], v[32:33]
	v_mul_i32_i24_e32 v32, 10, v78
	v_fmac_f64_e32 v[100:101], s[10:11], v[80:81]
	v_add_f64 v[68:69], v[68:69], v[106:107]
	v_fmac_f64_e32 v[94:95], s[2:3], v[92:93]
	v_add_f64 v[2:3], v[30:31], -v[34:35]
	v_add_f64 v[30:31], v[30:31], v[34:35]
	v_lshl_add_u32 v32, v32, 4, 0
	v_add_f64 v[64:65], v[86:87], -v[100:101]
	v_add_f64 v[82:83], v[68:69], -v[94:95]
	;; [unrolled: 1-line block ×4, first 2 shown]
	v_add_f64 v[14:15], v[86:87], v[100:101]
	v_add_f64 v[18:19], v[68:69], v[94:95]
	;; [unrolled: 1-line block ×8, first 2 shown]
	ds_write_b128 v32, v[28:31]
	ds_write_b128 v32, v[24:27] offset:16
	ds_write_b128 v32, v[20:23] offset:32
	;; [unrolled: 1-line block ×9, first 2 shown]
.LBB0_15:
	s_or_b64 exec, exec, s[14:15]
	s_movk_i32 s2, 0xcd
	v_mul_lo_u16_sdwa v0, v74, s2 dst_sel:DWORD dst_unused:UNUSED_PAD src0_sel:BYTE_0 src1_sel:DWORD
	v_lshrrev_b16_e32 v24, 11, v0
	v_mul_lo_u16_e32 v0, 10, v24
	v_sub_u16_e32 v25, v74, v0
	v_mov_b32_e32 v0, 15
	v_mul_u32_u24_sdwa v0, v25, v0 dst_sel:DWORD dst_unused:UNUSED_PAD src0_sel:BYTE_0 src1_sel:DWORD
	v_lshlrev_b32_e32 v70, 4, v0
	s_waitcnt lgkmcnt(0)
	s_barrier
	global_load_dwordx4 v[20:23], v70, s[8:9]
	global_load_dwordx4 v[16:19], v70, s[8:9] offset:16
	global_load_dwordx4 v[12:15], v70, s[8:9] offset:32
	;; [unrolled: 1-line block ×14, first 2 shown]
	v_lshl_add_u32 v82, v78, 4, 0
	s_movk_i32 s2, 0xff70
	ds_read_b128 v[84:87], v120
	ds_read_b128 v[88:91], v120 offset:8640
	ds_read_b128 v[92:95], v120 offset:10080
	;; [unrolled: 1-line block ×9, first 2 shown]
	v_mad_i32_i24 v79, v74, s2, v75
	ds_read_b128 v[126:129], v82
	ds_read_b128 v[130:133], v120 offset:21600
	ds_read_b128 v[134:137], v79 offset:2880
	;; [unrolled: 1-line block ×5, first 2 shown]
	s_mov_b32 s2, 0x667f3bcd
	s_mov_b32 s3, 0xbfe6a09e
	;; [unrolled: 1-line block ×12, first 2 shown]
	v_mul_u32_u24_e32 v24, 0xa0, v24
	v_or_b32_sdwa v24, v24, v25 dst_sel:DWORD dst_unused:UNUSED_PAD src0_sel:DWORD src1_sel:BYTE_0
	v_lshl_add_u32 v24, v24, 4, 0
	s_waitcnt lgkmcnt(0)
	s_barrier
	v_cmp_gt_u32_e32 vcc, 30, v74
	s_waitcnt vmcnt(14)
	v_mul_f64 v[70:71], v[128:129], v[22:23]
	v_mul_f64 v[22:23], v[126:127], v[22:23]
	s_waitcnt vmcnt(13)
	v_mul_f64 v[80:81], v[136:137], v[18:19]
	v_mul_f64 v[18:19], v[134:135], v[18:19]
	;; [unrolled: 3-line block ×7, first 2 shown]
	s_waitcnt vmcnt(7)
	v_mul_f64 v[160:161], v[98:99], v[40:41]
	v_fmac_f64_e32 v[70:71], v[126:127], v[20:21]
	v_fma_f64 v[20:21], v[128:129], v[20:21], -v[22:23]
	v_mul_f64 v[22:23], v[96:97], v[40:41]
	s_waitcnt vmcnt(6)
	v_mul_f64 v[40:41], v[102:103], v[44:45]
	v_mul_f64 v[44:45], v[100:101], v[44:45]
	s_waitcnt vmcnt(5)
	v_mul_f64 v[126:127], v[106:107], v[48:49]
	v_fmac_f64_e32 v[80:81], v[134:135], v[16:17]
	v_fma_f64 v[16:17], v[136:137], v[16:17], -v[18:19]
	v_mul_f64 v[18:19], v[104:105], v[48:49]
	s_waitcnt vmcnt(4)
	v_mul_f64 v[48:49], v[110:111], v[52:53]
	v_mul_f64 v[52:53], v[108:109], v[52:53]
	v_fmac_f64_e32 v[150:151], v[138:139], v[12:13]
	v_fma_f64 v[12:13], v[140:141], v[12:13], -v[14:15]
	v_fmac_f64_e32 v[152:153], v[142:143], v[0:1]
	v_fma_f64 v[0:1], v[144:145], v[0:1], -v[2:3]
	;; [unrolled: 2-line block ×3, first 2 shown]
	v_fma_f64 v[14:15], v[90:91], v[30:31], -v[32:33]
	v_fma_f64 v[26:27], v[94:95], v[34:35], -v[36:37]
	v_fmac_f64_e32 v[40:41], v[100:101], v[42:43]
	v_fma_f64 v[28:29], v[102:103], v[42:43], -v[44:45]
	v_fmac_f64_e32 v[126:127], v[104:105], v[46:47]
	v_fma_f64 v[18:19], v[106:107], v[46:47], -v[18:19]
	s_waitcnt vmcnt(3)
	v_mul_f64 v[32:33], v[114:115], v[56:57]
	s_waitcnt vmcnt(2)
	v_mul_f64 v[36:37], v[118:119], v[60:61]
	;; [unrolled: 2-line block ×4, first 2 shown]
	v_fmac_f64_e32 v[156:157], v[88:89], v[30:31]
	v_fmac_f64_e32 v[158:159], v[92:93], v[34:35]
	;; [unrolled: 1-line block ×3, first 2 shown]
	v_fma_f64 v[22:23], v[98:99], v[38:39], -v[22:23]
	v_fmac_f64_e32 v[48:49], v[108:109], v[50:51]
	v_fma_f64 v[30:31], v[110:111], v[50:51], -v[52:53]
	v_fmac_f64_e32 v[32:33], v[112:113], v[54:55]
	v_mul_f64 v[34:35], v[112:113], v[56:57]
	v_fmac_f64_e32 v[36:37], v[116:117], v[58:59]
	v_mul_f64 v[38:39], v[116:117], v[60:61]
	;; [unrolled: 2-line block ×4, first 2 shown]
	v_fma_f64 v[34:35], v[114:115], v[54:55], -v[34:35]
	v_fma_f64 v[38:39], v[118:119], v[58:59], -v[38:39]
	v_fma_f64 v[44:45], v[124:125], v[62:63], -v[44:45]
	v_fma_f64 v[50:51], v[132:133], v[66:67], -v[50:51]
	v_add_f64 v[22:23], v[86:87], -v[22:23]
	v_add_f64 v[32:33], v[152:153], -v[32:33]
	;; [unrolled: 1-line block ×11, first 2 shown]
	v_fma_f64 v[58:59], v[152:153], 2.0, -v[32:33]
	v_fma_f64 v[62:63], v[80:81], 2.0, -v[60:61]
	v_add_f64 v[44:45], v[14:15], -v[44:45]
	v_fma_f64 v[64:65], v[156:157], 2.0, -v[42:43]
	v_add_f64 v[28:29], v[20:21], -v[28:29]
	v_fma_f64 v[66:67], v[70:71], 2.0, -v[40:41]
	v_add_f64 v[38:39], v[2:3], -v[38:39]
	v_fma_f64 v[68:69], v[154:155], 2.0, -v[36:37]
	v_add_f64 v[30:31], v[12:13], -v[30:31]
	v_fma_f64 v[70:71], v[150:151], 2.0, -v[48:49]
	v_add_f64 v[50:51], v[26:27], -v[50:51]
	v_fma_f64 v[80:81], v[158:159], 2.0, -v[46:47]
	v_add_f64 v[32:33], v[22:23], -v[32:33]
	v_add_f64 v[42:43], v[18:19], -v[42:43]
	v_fma_f64 v[54:55], v[84:85], 2.0, -v[52:53]
	v_fma_f64 v[56:57], v[86:87], 2.0, -v[22:23]
	;; [unrolled: 1-line block ×9, first 2 shown]
	v_add_f64 v[34:35], v[52:53], v[34:35]
	v_fma_f64 v[22:23], v[22:23], 2.0, -v[32:33]
	v_add_f64 v[44:45], v[60:61], v[44:45]
	v_fma_f64 v[18:19], v[18:19], 2.0, -v[42:43]
	v_add_f64 v[68:69], v[66:67], -v[68:69]
	v_add_f64 v[36:37], v[28:29], -v[36:37]
	;; [unrolled: 1-line block ×6, first 2 shown]
	v_fma_f64 v[52:53], v[52:53], 2.0, -v[34:35]
	v_add_f64 v[64:65], v[62:63], -v[64:65]
	v_add_f64 v[14:15], v[16:17], -v[14:15]
	v_fma_f64 v[60:61], v[60:61], 2.0, -v[44:45]
	v_add_f64 v[2:3], v[20:21], -v[2:3]
	v_fma_f64 v[66:67], v[66:67], 2.0, -v[68:69]
	v_add_f64 v[38:39], v[40:41], v[38:39]
	v_fma_f64 v[28:29], v[28:29], 2.0, -v[36:37]
	v_add_f64 v[26:27], v[12:13], -v[26:27]
	v_fma_f64 v[70:71], v[70:71], 2.0, -v[80:81]
	v_add_f64 v[50:51], v[48:49], v[50:51]
	v_fma_f64 v[30:31], v[30:31], 2.0, -v[46:47]
	v_fma_f64 v[88:89], s[2:3], v[18:19], v[22:23]
	v_fma_f64 v[54:55], v[54:55], 2.0, -v[58:59]
	v_fma_f64 v[56:57], v[56:57], 2.0, -v[0:1]
	;; [unrolled: 1-line block ×8, first 2 shown]
	v_fma_f64 v[86:87], s[2:3], v[60:61], v[52:53]
	v_fmac_f64_e32 v[88:89], s[2:3], v[60:61]
	v_fma_f64 v[96:97], s[10:11], v[42:43], v[32:33]
	v_add_f64 v[60:61], v[66:67], -v[70:71]
	v_fma_f64 v[70:71], s[2:3], v[30:31], v[28:29]
	v_fma_f64 v[102:103], s[10:11], v[46:47], v[36:37]
	v_add_f64 v[62:63], v[54:55], -v[62:63]
	v_add_f64 v[84:85], v[56:57], -v[16:17]
	;; [unrolled: 1-line block ×3, first 2 shown]
	v_fma_f64 v[94:95], s[10:11], v[44:45], v[34:35]
	v_fmac_f64_e32 v[96:97], s[2:3], v[44:45]
	v_add_f64 v[64:65], v[20:21], -v[12:13]
	v_fma_f64 v[12:13], v[66:67], 2.0, -v[60:61]
	v_fma_f64 v[66:67], s[2:3], v[48:49], v[40:41]
	v_fmac_f64_e32 v[70:71], s[2:3], v[48:49]
	v_fma_f64 v[100:101], s[10:11], v[50:51], v[38:39]
	v_fmac_f64_e32 v[102:103], s[2:3], v[50:51]
	v_fma_f64 v[16:17], v[54:55], 2.0, -v[62:63]
	v_fma_f64 v[54:55], v[56:57], 2.0, -v[84:85]
	v_fmac_f64_e32 v[86:87], s[10:11], v[18:19]
	v_fma_f64 v[56:57], v[22:23], 2.0, -v[88:89]
	v_fmac_f64_e32 v[94:95], s[10:11], v[42:43]
	;; [unrolled: 2-line block ×3, first 2 shown]
	v_fma_f64 v[28:29], v[28:29], 2.0, -v[70:71]
	v_add_f64 v[80:81], v[2:3], -v[80:81]
	v_fmac_f64_e32 v[100:101], s[10:11], v[46:47]
	v_fma_f64 v[48:49], v[36:37], 2.0, -v[102:103]
	v_fma_f64 v[52:53], v[52:53], 2.0, -v[86:87]
	v_add_f64 v[90:91], v[58:59], v[14:15]
	v_fma_f64 v[0:1], v[0:1], 2.0, -v[92:93]
	v_fma_f64 v[42:43], v[34:35], 2.0, -v[94:95]
	;; [unrolled: 1-line block ×4, first 2 shown]
	v_add_f64 v[98:99], v[68:69], v[26:27]
	v_fma_f64 v[2:3], v[2:3], 2.0, -v[80:81]
	v_fma_f64 v[46:47], v[38:39], 2.0, -v[100:101]
	v_fma_f64 v[22:23], s[14:15], v[28:29], v[56:57]
	v_fma_f64 v[40:41], s[16:17], v[48:49], v[44:45]
	v_fma_f64 v[58:59], v[58:59], 2.0, -v[90:91]
	v_fma_f64 v[34:35], v[68:69], 2.0, -v[98:99]
	v_add_f64 v[14:15], v[54:55], -v[14:15]
	v_fma_f64 v[20:21], s[14:15], v[30:31], v[52:53]
	v_fmac_f64_e32 v[22:23], s[16:17], v[30:31]
	v_fma_f64 v[32:33], s[2:3], v[2:3], v[0:1]
	v_fma_f64 v[38:39], s[16:17], v[46:47], v[42:43]
	v_fmac_f64_e32 v[40:41], s[14:15], v[46:47]
	v_add_f64 v[46:47], v[62:63], v[64:65]
	v_fma_f64 v[18:19], v[54:55], 2.0, -v[14:15]
	v_fmac_f64_e32 v[20:21], s[12:13], v[28:29]
	v_fma_f64 v[28:29], v[56:57], 2.0, -v[22:23]
	v_fma_f64 v[30:31], s[2:3], v[34:35], v[58:59]
	v_fmac_f64_e32 v[32:33], s[2:3], v[34:35]
	v_fma_f64 v[50:51], v[62:63], 2.0, -v[46:47]
	v_fma_f64 v[54:55], s[12:13], v[66:67], v[86:87]
	v_fma_f64 v[56:57], s[12:13], v[70:71], v[88:89]
	;; [unrolled: 1-line block ×4, first 2 shown]
	v_add_f64 v[12:13], v[16:17], -v[12:13]
	v_fmac_f64_e32 v[30:31], s[10:11], v[2:3]
	v_fma_f64 v[36:37], v[0:1], 2.0, -v[32:33]
	v_fmac_f64_e32 v[38:39], s[18:19], v[48:49]
	v_add_f64 v[48:49], v[84:85], -v[60:61]
	v_fmac_f64_e32 v[54:55], s[18:19], v[70:71]
	v_fmac_f64_e32 v[56:57], s[14:15], v[66:67]
	;; [unrolled: 1-line block ×4, first 2 shown]
	v_fma_f64 v[0:1], s[18:19], v[100:101], v[94:95]
	v_fma_f64 v[2:3], s[18:19], v[102:103], v[96:97]
	v_fma_f64 v[16:17], v[16:17], 2.0, -v[12:13]
	v_fma_f64 v[26:27], v[52:53], 2.0, -v[20:21]
	;; [unrolled: 1-line block ×10, first 2 shown]
	v_fmac_f64_e32 v[0:1], s[12:13], v[102:103]
	v_fmac_f64_e32 v[2:3], s[16:17], v[100:101]
	v_fma_f64 v[84:85], v[94:95], 2.0, -v[0:1]
	v_fma_f64 v[86:87], v[96:97], 2.0, -v[2:3]
	ds_write_b128 v24, v[16:19]
	ds_write_b128 v24, v[26:29] offset:160
	ds_write_b128 v24, v[34:37] offset:320
	;; [unrolled: 1-line block ×15, first 2 shown]
	s_waitcnt lgkmcnt(0)
	s_barrier
	ds_read_b128 v[28:31], v120
	ds_read_b128 v[64:67], v120 offset:7680
	ds_read_b128 v[56:59], v120 offset:15360
	ds_read_b128 v[48:51], v120 offset:16800
	ds_read_b128 v[52:55], v120 offset:9120
	ds_read_b128 v[60:63], v120 offset:10560
	ds_read_b128 v[20:23], v79 offset:2880
	ds_read_b128 v[16:19], v79 offset:4320
	ds_read_b128 v[68:71], v120 offset:18240
	ds_read_b128 v[32:35], v120 offset:19680
	ds_read_b128 v[12:15], v79 offset:5760
	ds_read_b128 v[44:47], v120 offset:12000
	ds_read_b128 v[36:39], v120 offset:13440
	ds_read_b128 v[24:27], v82
	ds_read_b128 v[40:43], v120 offset:21120
	v_mul_i32_i24_e32 v79, 0xffffff70, v74
	v_add_u32_e32 v83, v75, v79
	s_and_saveexec_b64 s[2:3], vcc
	s_cbranch_execz .LBB0_17
; %bb.16:
	ds_read_b128 v[0:3], v83 offset:7200
	ds_read_b128 v[4:7], v120 offset:14880
	;; [unrolled: 1-line block ×3, first 2 shown]
.LBB0_17:
	s_or_b64 exec, exec, s[2:3]
	s_movk_i32 s2, 0x46
	v_lshlrev_b32_e32 v84, 1, v74
	v_mov_b32_e32 v85, 0
	v_add_u32_e32 v75, 0xffffffba, v74
	v_cmp_gt_u32_e64 s[2:3], s2, v74
	v_lshl_add_u64 v[80:81], v[84:85], 4, s[8:9]
	v_add_u32_e32 v84, 40, v84
	v_cndmask_b32_e64 v121, v75, v78, s[2:3]
	v_lshl_add_u64 v[102:103], v[84:85], 4, s[8:9]
	v_lshlrev_b32_e32 v84, 1, v121
	v_lshl_add_u64 v[84:85], v[84:85], 4, s[8:9]
	global_load_dwordx4 v[86:89], v[80:81], off offset:2400
	global_load_dwordx4 v[90:93], v[80:81], off offset:2416
	;; [unrolled: 1-line block ×4, first 2 shown]
	s_nop 0
	global_load_dwordx4 v[102:105], v[84:85], off offset:2400
	global_load_dwordx4 v[106:109], v[84:85], off offset:2416
	v_add_u32_e32 v84, 0x10e, v74
	v_add_u32_e32 v79, 0x168, v74
	s_mov_b32 s2, 0xcccd
	v_mul_u32_u24_sdwa v85, v84, s2 dst_sel:DWORD dst_unused:UNUSED_PAD src0_sel:WORD_0 src1_sel:DWORD
	v_mul_u32_u24_sdwa v110, v79, s2 dst_sel:DWORD dst_unused:UNUSED_PAD src0_sel:WORD_0 src1_sel:DWORD
	v_lshrrev_b32_e32 v140, 23, v85
	v_lshrrev_b32_e32 v85, 23, v110
	v_add_u32_e32 v75, 0x1c2, v74
	v_mul_lo_u16_e32 v110, 0xa0, v140
	v_mul_lo_u16_e32 v85, 0xa0, v85
	v_mul_u32_u24_sdwa v111, v75, s2 dst_sel:DWORD dst_unused:UNUSED_PAD src0_sel:WORD_0 src1_sel:DWORD
	v_sub_u16_e32 v141, v84, v110
	v_sub_u16_e32 v142, v79, v85
	v_lshrrev_b32_e32 v118, 23, v111
	v_lshlrev_b32_e32 v119, 5, v141
	v_lshlrev_b32_e32 v85, 5, v142
	global_load_dwordx4 v[110:113], v119, s[8:9] offset:2416
	global_load_dwordx4 v[114:117], v119, s[8:9] offset:2400
	;; [unrolled: 1-line block ×4, first 2 shown]
	v_mul_lo_u16_e32 v85, 0xa0, v118
	v_sub_u16_e32 v85, v75, v85
	v_lshlrev_b32_e32 v118, 5, v85
	global_load_dwordx4 v[130:133], v118, s[8:9] offset:2400
	global_load_dwordx4 v[134:137], v118, s[8:9] offset:2416
	s_mov_b32 s2, 0xe8584caa
	s_mov_b32 s3, 0xbfebb67a
	;; [unrolled: 1-line block ×4, first 2 shown]
	s_waitcnt lgkmcnt(0)
	s_barrier
	s_waitcnt vmcnt(11)
	v_mul_f64 v[118:119], v[66:67], v[88:89]
	v_mul_f64 v[88:89], v[64:65], v[88:89]
	s_waitcnt vmcnt(10)
	v_mul_f64 v[138:139], v[58:59], v[92:93]
	v_mul_f64 v[92:93], v[56:57], v[92:93]
	v_fmac_f64_e32 v[118:119], v[64:65], v[86:87]
	v_fma_f64 v[64:65], v[66:67], v[86:87], -v[88:89]
	v_fmac_f64_e32 v[138:139], v[56:57], v[90:91]
	v_fma_f64 v[56:57], v[58:59], v[90:91], -v[92:93]
	s_waitcnt vmcnt(9)
	v_mul_f64 v[58:59], v[62:63], v[96:97]
	v_mul_f64 v[66:67], v[60:61], v[96:97]
	s_waitcnt vmcnt(8)
	v_mul_f64 v[86:87], v[70:71], v[100:101]
	v_mul_f64 v[88:89], v[68:69], v[100:101]
	v_fmac_f64_e32 v[58:59], v[60:61], v[94:95]
	v_fma_f64 v[60:61], v[62:63], v[94:95], -v[66:67]
	v_fmac_f64_e32 v[86:87], v[68:69], v[98:99]
	v_fma_f64 v[62:63], v[70:71], v[98:99], -v[88:89]
	;; [unrolled: 10-line block ×3, first 2 shown]
	s_waitcnt vmcnt(1)
	v_mul_f64 v[98:99], v[6:7], v[132:133]
	v_mul_f64 v[100:101], v[4:5], v[132:133]
	v_fmac_f64_e32 v[98:99], v[4:5], v[130:131]
	s_waitcnt vmcnt(0)
	v_mul_f64 v[4:5], v[8:9], v[136:137]
	v_mul_f64 v[88:89], v[34:35], v[112:113]
	;; [unrolled: 1-line block ×3, first 2 shown]
	v_fma_f64 v[10:11], v[10:11], v[134:135], -v[4:5]
	v_add_f64 v[4:5], v[28:29], v[118:119]
	v_mul_f64 v[54:55], v[32:33], v[112:113]
	v_fmac_f64_e32 v[88:89], v[32:33], v[110:111]
	v_add_f64 v[32:33], v[4:5], v[138:139]
	v_add_f64 v[4:5], v[118:119], v[138:139]
	v_mul_f64 v[90:91], v[38:39], v[128:129]
	v_fmac_f64_e32 v[28:29], -0.5, v[4:5]
	v_add_f64 v[4:5], v[64:65], -v[56:57]
	v_mul_f64 v[92:93], v[36:37], v[128:129]
	v_fmac_f64_e32 v[90:91], v[36:37], v[126:127]
	v_fma_f64 v[36:37], s[2:3], v[4:5], v[28:29]
	v_fmac_f64_e32 v[28:29], s[10:11], v[4:5]
	v_add_f64 v[4:5], v[30:31], v[64:65]
	v_fma_f64 v[106:107], v[34:35], v[110:111], -v[54:55]
	v_add_f64 v[34:35], v[4:5], v[56:57]
	v_add_f64 v[4:5], v[64:65], v[56:57]
	v_fmac_f64_e32 v[30:31], -0.5, v[4:5]
	v_add_f64 v[4:5], v[118:119], -v[138:139]
	v_mul_f64 v[94:95], v[42:43], v[124:125]
	v_fma_f64 v[92:93], v[38:39], v[126:127], -v[92:93]
	v_fma_f64 v[38:39], s[10:11], v[4:5], v[30:31]
	v_fmac_f64_e32 v[30:31], s[2:3], v[4:5]
	v_add_f64 v[4:5], v[24:25], v[66:67]
	v_mul_f64 v[96:97], v[40:41], v[124:125]
	v_fmac_f64_e32 v[94:95], v[40:41], v[122:123]
	v_add_f64 v[40:41], v[4:5], v[70:71]
	v_add_f64 v[4:5], v[66:67], v[70:71]
	v_mul_f64 v[68:69], v[46:47], v[116:117]
	v_fmac_f64_e32 v[24:25], -0.5, v[4:5]
	v_add_f64 v[4:5], v[52:53], -v[48:49]
	v_mul_f64 v[50:51], v[44:45], v[116:117]
	v_fmac_f64_e32 v[68:69], v[44:45], v[114:115]
	v_fma_f64 v[44:45], s[2:3], v[4:5], v[24:25]
	v_fmac_f64_e32 v[24:25], s[10:11], v[4:5]
	v_add_f64 v[4:5], v[26:27], v[52:53]
	v_fma_f64 v[96:97], v[42:43], v[122:123], -v[96:97]
	v_add_f64 v[42:43], v[4:5], v[48:49]
	v_add_f64 v[4:5], v[52:53], v[48:49]
	v_fmac_f64_e32 v[26:27], -0.5, v[4:5]
	v_add_f64 v[4:5], v[66:67], -v[70:71]
	v_fma_f64 v[104:105], v[46:47], v[114:115], -v[50:51]
	v_fma_f64 v[46:47], s[10:11], v[4:5], v[26:27]
	v_fmac_f64_e32 v[26:27], s[2:3], v[4:5]
	v_add_f64 v[4:5], v[20:21], v[58:59]
	v_add_f64 v[48:49], v[4:5], v[86:87]
	v_add_f64 v[4:5], v[58:59], v[86:87]
	v_fmac_f64_e32 v[20:21], -0.5, v[4:5]
	v_add_f64 v[4:5], v[60:61], -v[62:63]
	v_fma_f64 v[52:53], s[2:3], v[4:5], v[20:21]
	v_fmac_f64_e32 v[20:21], s[10:11], v[4:5]
	v_add_f64 v[4:5], v[22:23], v[60:61]
	v_add_f64 v[50:51], v[4:5], v[62:63]
	v_add_f64 v[4:5], v[60:61], v[62:63]
	v_fmac_f64_e32 v[22:23], -0.5, v[4:5]
	v_add_f64 v[4:5], v[58:59], -v[86:87]
	;; [unrolled: 7-line block ×5, first 2 shown]
	v_fma_f64 v[68:69], s[2:3], v[4:5], v[12:13]
	v_fmac_f64_e32 v[12:13], s[10:11], v[4:5]
	v_add_f64 v[4:5], v[14:15], v[92:93]
	v_fmac_f64_e32 v[102:103], v[8:9], v[134:135]
	v_add_f64 v[66:67], v[4:5], v[96:97]
	v_add_f64 v[4:5], v[92:93], v[96:97]
	v_fma_f64 v[100:101], v[6:7], v[130:131], -v[100:101]
	v_fmac_f64_e32 v[14:15], -0.5, v[4:5]
	v_add_f64 v[4:5], v[90:91], -v[94:95]
	v_add_f64 v[6:7], v[98:99], v[102:103]
	v_fma_f64 v[70:71], s[10:11], v[4:5], v[14:15]
	v_fmac_f64_e32 v[14:15], s[2:3], v[4:5]
	v_add_f64 v[4:5], v[0:1], v[98:99]
	v_fmac_f64_e32 v[0:1], -0.5, v[6:7]
	v_add_f64 v[6:7], v[100:101], -v[10:11]
	v_fma_f64 v[8:9], s[2:3], v[6:7], v[0:1]
	v_fmac_f64_e32 v[0:1], s[10:11], v[6:7]
	v_add_f64 v[6:7], v[2:3], v[100:101]
	v_add_f64 v[6:7], v[6:7], v[10:11]
	;; [unrolled: 1-line block ×3, first 2 shown]
	v_fmac_f64_e32 v[2:3], -0.5, v[10:11]
	v_add_f64 v[86:87], v[98:99], -v[102:103]
	v_fma_f64 v[10:11], s[10:11], v[86:87], v[2:3]
	v_fmac_f64_e32 v[2:3], s[2:3], v[86:87]
	s_movk_i32 s2, 0x45
	ds_write_b128 v120, v[32:35]
	ds_write_b128 v120, v[36:39] offset:2560
	ds_write_b128 v120, v[28:31] offset:5120
	v_mov_b32_e32 v28, 0x1e00
	v_cmp_lt_u32_e64 s[2:3], s2, v74
	v_lshlrev_b32_e32 v29, 4, v121
	v_add_f64 v[4:5], v[4:5], v[102:103]
	v_cndmask_b32_e64 v28, 0, v28, s[2:3]
	v_add3_u32 v28, 0, v28, v29
	ds_write_b128 v28, v[40:43]
	ds_write_b128 v28, v[44:47] offset:2560
	ds_write_b128 v28, v[24:27] offset:5120
	;; [unrolled: 1-line block ×5, first 2 shown]
	v_mul_u32_u24_e32 v20, 0x1e00, v140
	v_lshlrev_b32_e32 v21, 4, v141
	v_add3_u32 v20, 0, v20, v21
	ds_write_b128 v20, v[56:59]
	ds_write_b128 v20, v[60:63] offset:2560
	ds_write_b128 v20, v[16:19] offset:5120
	v_lshl_add_u32 v16, v142, 4, 0
	ds_write_b128 v16, v[64:67] offset:15360
	ds_write_b128 v16, v[68:71] offset:17920
	;; [unrolled: 1-line block ×3, first 2 shown]
	s_and_saveexec_b64 s[2:3], vcc
	s_cbranch_execz .LBB0_19
; %bb.18:
	v_lshl_add_u32 v12, v85, 4, 0
	ds_write_b128 v12, v[4:7] offset:15360
	ds_write_b128 v12, v[8:11] offset:17920
	;; [unrolled: 1-line block ×3, first 2 shown]
.LBB0_19:
	s_or_b64 exec, exec, s[2:3]
	s_waitcnt lgkmcnt(0)
	s_barrier
	ds_read_b128 v[24:27], v120
	ds_read_b128 v[64:67], v120 offset:7680
	ds_read_b128 v[68:71], v120 offset:15360
	;; [unrolled: 1-line block ×12, first 2 shown]
	ds_read_b128 v[28:31], v82
	ds_read_b128 v[36:39], v120 offset:21120
	s_and_saveexec_b64 s[2:3], vcc
	s_cbranch_execz .LBB0_21
; %bb.20:
	ds_read_b128 v[4:7], v83 offset:7200
	ds_read_b128 v[8:11], v120 offset:14880
	;; [unrolled: 1-line block ×3, first 2 shown]
.LBB0_21:
	s_or_b64 exec, exec, s[2:3]
	s_mov_b64 s[10:11], 0x1d60
	s_movk_i32 s12, 0x1000
	v_lshl_add_u64 v[94:95], v[80:81], 0, s[10:11]
	v_add_co_u32_e64 v80, s[2:3], s12, v80
	s_mov_b32 s13, 0x3febb67a
	s_nop 0
	v_addc_co_u32_e64 v81, s[2:3], 0, v81, s[2:3]
	global_load_dwordx4 v[86:89], v[80:81], off offset:3424
	global_load_dwordx4 v[90:93], v[94:95], off offset:16
	v_lshlrev_b32_e32 v80, 1, v78
	v_mov_b32_e32 v81, 0
	v_lshl_add_u64 v[94:95], v[80:81], 4, s[8:9]
	v_mov_b32_e32 v80, 0x168
	v_add_co_u32_e64 v104, s[2:3], s12, v94
	v_lshl_add_u32 v80, v74, 1, v80
	v_lshl_add_u64 v[102:103], v[94:95], 0, s[10:11]
	v_addc_co_u32_e64 v105, s[2:3], 0, v95, s[2:3]
	v_lshl_add_u64 v[106:107], v[80:81], 4, s[8:9]
	global_load_dwordx4 v[94:97], v[102:103], off offset:16
	global_load_dwordx4 v[98:101], v[104:105], off offset:3424
	v_lshl_add_u64 v[102:103], v[106:107], 0, s[10:11]
	v_add_co_u32_e64 v106, s[2:3], s12, v106
	v_lshlrev_b32_e32 v80, 1, v84
	s_nop 0
	v_addc_co_u32_e64 v107, s[2:3], 0, v107, s[2:3]
	v_lshl_add_u64 v[84:85], v[80:81], 4, s[8:9]
	v_lshl_add_u64 v[110:111], v[84:85], 0, s[10:11]
	v_add_co_u32_e64 v84, s[2:3], s12, v84
	v_lshlrev_b32_e32 v80, 1, v79
	s_nop 0
	v_addc_co_u32_e64 v85, s[2:3], 0, v85, s[2:3]
	global_load_dwordx4 v[102:105], v[102:103], off offset:16
	s_nop 0
	global_load_dwordx4 v[114:117], v[84:85], off offset:3424
	v_lshl_add_u64 v[84:85], v[80:81], 4, s[8:9]
	global_load_dwordx4 v[106:109], v[106:107], off offset:3424
	v_lshl_add_u64 v[118:119], v[84:85], 0, s[10:11]
	v_add_co_u32_e64 v84, s[2:3], s12, v84
	global_load_dwordx4 v[110:113], v[110:111], off offset:16
	s_nop 0
	v_addc_co_u32_e64 v85, s[2:3], 0, v85, s[2:3]
	global_load_dwordx4 v[122:125], v[118:119], off offset:16
	global_load_dwordx4 v[126:129], v[84:85], off offset:3424
	s_mov_b32 s2, 0xe8584caa
	s_mov_b32 s3, 0xbfebb67a
	;; [unrolled: 1-line block ×3, first 2 shown]
	s_waitcnt lgkmcnt(0)
	s_barrier
	s_waitcnt vmcnt(9)
	v_mul_f64 v[118:119], v[66:67], v[88:89]
	v_mul_f64 v[88:89], v[64:65], v[88:89]
	v_fmac_f64_e32 v[118:119], v[64:65], v[86:87]
	v_fma_f64 v[64:65], v[66:67], v[86:87], -v[88:89]
	s_waitcnt vmcnt(8)
	v_mul_f64 v[84:85], v[70:71], v[92:93]
	v_mul_f64 v[92:93], v[68:69], v[92:93]
	v_fmac_f64_e32 v[84:85], v[68:69], v[90:91]
	v_fma_f64 v[68:69], v[70:71], v[90:91], -v[92:93]
	s_waitcnt vmcnt(7)
	v_mul_f64 v[70:71], v[62:63], v[96:97]
	s_waitcnt vmcnt(6)
	v_mul_f64 v[66:67], v[58:59], v[100:101]
	v_mul_f64 v[86:87], v[56:57], v[100:101]
	v_fmac_f64_e32 v[66:67], v[56:57], v[98:99]
	v_fma_f64 v[56:57], v[58:59], v[98:99], -v[86:87]
	v_mul_f64 v[90:91], v[60:61], v[96:97]
	v_fmac_f64_e32 v[70:71], v[60:61], v[94:95]
	v_fma_f64 v[60:61], v[62:63], v[94:95], -v[90:91]
	v_add_f64 v[90:91], v[24:25], v[118:119]
	s_waitcnt vmcnt(5)
	v_mul_f64 v[62:63], v[54:55], v[104:105]
	v_mul_f64 v[88:89], v[52:53], v[104:105]
	v_fmac_f64_e32 v[62:63], v[52:53], v[102:103]
	v_fma_f64 v[54:55], v[54:55], v[102:103], -v[88:89]
	s_waitcnt vmcnt(3)
	v_mul_f64 v[58:59], v[42:43], v[108:109]
	v_mul_f64 v[86:87], v[40:41], v[108:109]
	v_fmac_f64_e32 v[58:59], v[40:41], v[106:107]
	v_mul_f64 v[40:41], v[44:45], v[116:117]
	v_fma_f64 v[98:99], v[46:47], v[114:115], -v[40:41]
	v_fma_f64 v[86:87], v[42:43], v[106:107], -v[86:87]
	s_waitcnt vmcnt(2)
	v_mul_f64 v[88:89], v[50:51], v[112:113]
	s_waitcnt vmcnt(1)
	v_mul_f64 v[42:43], v[36:37], v[124:125]
	;; [unrolled: 2-line block ×3, first 2 shown]
	v_mul_f64 v[100:101], v[34:35], v[128:129]
	v_fma_f64 v[104:105], v[34:35], v[126:127], -v[40:41]
	v_add_f64 v[34:35], v[118:119], v[84:85]
	v_mul_f64 v[96:97], v[38:39], v[124:125]
	v_fma_f64 v[102:103], v[38:39], v[122:123], -v[42:43]
	v_fmac_f64_e32 v[24:25], -0.5, v[34:35]
	v_add_f64 v[34:35], v[64:65], -v[68:69]
	v_add_f64 v[38:39], v[64:65], v[68:69]
	v_fmac_f64_e32 v[96:97], v[36:37], v[122:123]
	v_fma_f64 v[36:37], s[2:3], v[34:35], v[24:25]
	v_fmac_f64_e32 v[24:25], s[12:13], v[34:35]
	v_add_f64 v[34:35], v[26:27], v[64:65]
	v_fmac_f64_e32 v[26:27], -0.5, v[38:39]
	v_add_f64 v[40:41], v[118:119], -v[84:85]
	v_add_f64 v[42:43], v[66:67], v[70:71]
	v_mul_f64 v[52:53], v[48:49], v[112:113]
	v_mul_f64 v[92:93], v[46:47], v[116:117]
	v_fma_f64 v[38:39], s[12:13], v[40:41], v[26:27]
	v_fmac_f64_e32 v[26:27], s[2:3], v[40:41]
	v_add_f64 v[40:41], v[28:29], v[66:67]
	v_fmac_f64_e32 v[28:29], -0.5, v[42:43]
	v_add_f64 v[42:43], v[56:57], -v[60:61]
	v_add_f64 v[46:47], v[56:57], v[60:61]
	v_fmac_f64_e32 v[88:89], v[48:49], v[110:111]
	v_fma_f64 v[94:95], v[50:51], v[110:111], -v[52:53]
	v_fmac_f64_e32 v[92:93], v[44:45], v[114:115]
	v_fma_f64 v[44:45], s[2:3], v[42:43], v[28:29]
	v_fmac_f64_e32 v[28:29], s[12:13], v[42:43]
	v_add_f64 v[42:43], v[30:31], v[56:57]
	v_fmac_f64_e32 v[30:31], -0.5, v[46:47]
	v_add_f64 v[48:49], v[66:67], -v[70:71]
	v_add_f64 v[50:51], v[58:59], v[62:63]
	v_fma_f64 v[46:47], s[12:13], v[48:49], v[30:31]
	v_fmac_f64_e32 v[30:31], s[2:3], v[48:49]
	v_add_f64 v[48:49], v[20:21], v[58:59]
	v_fmac_f64_e32 v[20:21], -0.5, v[50:51]
	v_add_f64 v[50:51], v[86:87], -v[54:55]
	v_fma_f64 v[52:53], s[2:3], v[50:51], v[20:21]
	v_fmac_f64_e32 v[20:21], s[12:13], v[50:51]
	v_add_f64 v[50:51], v[22:23], v[86:87]
	v_add_f64 v[50:51], v[50:51], v[54:55]
	;; [unrolled: 1-line block ×3, first 2 shown]
	v_fmac_f64_e32 v[22:23], -0.5, v[54:55]
	v_add_f64 v[56:57], v[58:59], -v[62:63]
	v_add_f64 v[58:59], v[92:93], v[88:89]
	v_fmac_f64_e32 v[100:101], v[32:33], v[126:127]
	v_add_f64 v[48:49], v[48:49], v[62:63]
	v_fma_f64 v[54:55], s[12:13], v[56:57], v[22:23]
	v_fmac_f64_e32 v[22:23], s[2:3], v[56:57]
	v_add_f64 v[56:57], v[16:17], v[92:93]
	v_fmac_f64_e32 v[16:17], -0.5, v[58:59]
	v_add_f64 v[58:59], v[98:99], -v[94:95]
	v_add_f64 v[62:63], v[98:99], v[94:95]
	v_add_f64 v[42:43], v[42:43], v[60:61]
	v_fma_f64 v[60:61], s[2:3], v[58:59], v[16:17]
	v_fmac_f64_e32 v[16:17], s[12:13], v[58:59]
	v_add_f64 v[58:59], v[18:19], v[98:99]
	v_fmac_f64_e32 v[18:19], -0.5, v[62:63]
	v_add_f64 v[64:65], v[92:93], -v[88:89]
	v_add_f64 v[66:67], v[100:101], v[96:97]
	;; [unrolled: 7-line block ×3, first 2 shown]
	v_add_f64 v[32:33], v[90:91], v[84:85]
	v_add_f64 v[34:35], v[34:35], v[68:69]
	v_fma_f64 v[68:69], s[2:3], v[66:67], v[12:13]
	v_fmac_f64_e32 v[12:13], s[12:13], v[66:67]
	v_add_f64 v[66:67], v[14:15], v[104:105]
	v_fmac_f64_e32 v[14:15], -0.5, v[70:71]
	v_add_f64 v[84:85], v[100:101], -v[96:97]
	v_add_f64 v[56:57], v[56:57], v[88:89]
	v_add_f64 v[58:59], v[58:59], v[94:95]
	;; [unrolled: 1-line block ×4, first 2 shown]
	v_fma_f64 v[70:71], s[12:13], v[84:85], v[14:15]
	v_fmac_f64_e32 v[14:15], s[2:3], v[84:85]
	ds_write_b128 v120, v[32:35]
	ds_write_b128 v120, v[36:39] offset:7680
	ds_write_b128 v120, v[24:27] offset:15360
	ds_write_b128 v82, v[40:43]
	ds_write_b128 v82, v[44:47] offset:7680
	ds_write_b128 v82, v[28:31] offset:15360
	;; [unrolled: 1-line block ×11, first 2 shown]
	s_and_saveexec_b64 s[14:15], vcc
	s_cbranch_execz .LBB0_23
; %bb.22:
	v_subrev_u32_e32 v12, 30, v74
	v_cndmask_b32_e32 v12, v12, v75, vcc
	v_lshlrev_b32_e32 v80, 1, v12
	v_lshl_add_u64 v[12:13], v[80:81], 4, s[8:9]
	v_add_co_u32_e32 v22, vcc, 0x1000, v12
	v_lshl_add_u64 v[20:21], v[12:13], 0, s[10:11]
	s_nop 0
	v_addc_co_u32_e32 v23, vcc, 0, v13, vcc
	global_load_dwordx4 v[12:15], v[22:23], off offset:3424
	global_load_dwordx4 v[16:19], v[20:21], off offset:16
	s_waitcnt vmcnt(1)
	v_mul_f64 v[20:21], v[8:9], v[14:15]
	s_waitcnt vmcnt(0)
	v_mul_f64 v[22:23], v[0:1], v[18:19]
	v_mul_f64 v[14:15], v[10:11], v[14:15]
	;; [unrolled: 1-line block ×3, first 2 shown]
	v_fma_f64 v[10:11], v[10:11], v[12:13], -v[20:21]
	v_fma_f64 v[20:21], v[2:3], v[16:17], -v[22:23]
	v_fmac_f64_e32 v[14:15], v[8:9], v[12:13]
	v_fmac_f64_e32 v[18:19], v[0:1], v[16:17]
	v_add_f64 v[0:1], v[10:11], v[20:21]
	v_add_f64 v[8:9], v[14:15], -v[18:19]
	v_add_f64 v[12:13], v[6:7], v[10:11]
	v_add_f64 v[16:17], v[10:11], -v[20:21]
	v_add_f64 v[10:11], v[14:15], v[18:19]
	v_add_f64 v[14:15], v[4:5], v[14:15]
	v_fma_f64 v[2:3], -0.5, v[0:1], v[6:7]
	v_add_f64 v[6:7], v[12:13], v[20:21]
	v_fma_f64 v[0:1], -0.5, v[10:11], v[4:5]
	v_add_f64 v[4:5], v[14:15], v[18:19]
	v_fma_f64 v[10:11], s[2:3], v[8:9], v[2:3]
	v_fmac_f64_e32 v[2:3], s[12:13], v[8:9]
	v_fma_f64 v[8:9], s[12:13], v[16:17], v[0:1]
	v_fmac_f64_e32 v[0:1], s[2:3], v[16:17]
	ds_write_b128 v120, v[4:7] offset:7200
	ds_write_b128 v120, v[0:3] offset:14880
	;; [unrolled: 1-line block ×3, first 2 shown]
.LBB0_23:
	s_or_b64 exec, exec, s[14:15]
	s_waitcnt lgkmcnt(0)
	s_barrier
	ds_read_b128 v[4:7], v120
	s_add_u32 s2, s8, 0x5960
	v_lshlrev_b32_e32 v0, 4, v74
	s_addc_u32 s3, s9, 0
	v_sub_u32_e32 v14, 0, v0
	v_cmp_ne_u32_e32 vcc, 0, v74
                                        ; implicit-def: $vgpr0_vgpr1
                                        ; implicit-def: $vgpr8_vgpr9
                                        ; implicit-def: $vgpr10_vgpr11
                                        ; implicit-def: $vgpr12_vgpr13
	s_and_saveexec_b64 s[8:9], vcc
	s_xor_b64 s[8:9], exec, s[8:9]
	s_cbranch_execz .LBB0_25
; %bb.24:
	v_mov_b32_e32 v75, 0
	v_lshl_add_u64 v[0:1], v[74:75], 4, s[2:3]
	global_load_dwordx4 v[0:3], v[0:1], off
	ds_read_b128 v[8:11], v14 offset:23040
	s_waitcnt lgkmcnt(0)
	v_add_f64 v[12:13], v[4:5], v[8:9]
	v_add_f64 v[4:5], v[4:5], -v[8:9]
	v_add_f64 v[16:17], v[6:7], v[10:11]
	v_add_f64 v[6:7], v[6:7], -v[10:11]
	v_mul_f64 v[4:5], v[4:5], 0.5
	v_mul_f64 v[16:17], v[16:17], 0.5
	;; [unrolled: 1-line block ×3, first 2 shown]
	s_waitcnt vmcnt(0)
	v_mul_f64 v[18:19], v[4:5], v[2:3]
	v_fma_f64 v[10:11], v[16:17], v[2:3], v[6:7]
	v_fma_f64 v[2:3], v[16:17], v[2:3], -v[6:7]
	v_fma_f64 v[8:9], 0.5, v[12:13], v[18:19]
	v_fma_f64 v[6:7], v[12:13], 0.5, -v[18:19]
	v_fma_f64 v[10:11], -v[0:1], v[4:5], v[10:11]
	v_fma_f64 v[2:3], -v[0:1], v[4:5], v[2:3]
	v_fmac_f64_e32 v[8:9], v[16:17], v[0:1]
	v_fma_f64 v[0:1], -v[16:17], v[0:1], v[6:7]
	v_mov_b64_e32 v[12:13], v[74:75]
                                        ; implicit-def: $vgpr4_vgpr5
.LBB0_25:
	s_andn2_saveexec_b64 s[8:9], s[8:9]
	s_cbranch_execz .LBB0_27
; %bb.26:
	v_mov_b32_e32 v15, 0
	ds_read_b64 v[2:3], v15 offset:11528
	v_mov_b64_e32 v[10:11], 0
	s_waitcnt lgkmcnt(1)
	v_add_f64 v[8:9], v[4:5], v[6:7]
	v_add_f64 v[0:1], v[4:5], -v[6:7]
	v_mov_b64_e32 v[12:13], 0
	s_waitcnt lgkmcnt(0)
	v_xor_b32_e32 v3, 0x80000000, v3
	ds_write_b64 v15, v[2:3] offset:11528
	v_mov_b64_e32 v[2:3], v[10:11]
.LBB0_27:
	s_or_b64 exec, exec, s[8:9]
	v_mov_b32_e32 v79, 0
	s_waitcnt lgkmcnt(0)
	v_lshl_add_u64 v[4:5], v[78:79], 4, s[2:3]
	global_load_dwordx4 v[4:7], v[4:5], off
	v_lshl_add_u64 v[12:13], v[12:13], 4, s[2:3]
	global_load_dwordx4 v[16:19], v[12:13], off offset:2880
	s_movk_i32 s2, 0x1000
	v_add_co_u32_e32 v28, vcc, s2, v12
	s_movk_i32 s2, 0x2000
	s_nop 0
	v_addc_co_u32_e32 v29, vcc, 0, v13, vcc
	global_load_dwordx4 v[20:23], v[28:29], off offset:224
	ds_write2_b64 v120, v[8:9], v[10:11] offset1:1
	ds_write_b128 v14, v[0:3] offset:23040
	ds_read_b128 v[0:3], v82
	ds_read_b128 v[8:11], v14 offset:21600
	global_load_dwordx4 v[24:27], v[28:29], off offset:1664
	v_add_co_u32_e32 v12, vcc, s2, v12
	v_add_u32_e32 v15, 0x2000, v120
	s_waitcnt lgkmcnt(0)
	v_add_f64 v[30:31], v[0:1], v[8:9]
	v_add_f64 v[0:1], v[0:1], -v[8:9]
	v_add_f64 v[32:33], v[2:3], v[10:11]
	v_add_f64 v[2:3], v[2:3], -v[10:11]
	v_mul_f64 v[0:1], v[0:1], 0.5
	v_mul_f64 v[8:9], v[32:33], 0.5
	;; [unrolled: 1-line block ×3, first 2 shown]
	v_addc_co_u32_e32 v13, vcc, 0, v13, vcc
	s_waitcnt vmcnt(3)
	v_mul_f64 v[10:11], v[0:1], v[6:7]
	v_fma_f64 v[32:33], v[8:9], v[6:7], v[2:3]
	v_fma_f64 v[2:3], v[8:9], v[6:7], -v[2:3]
	v_fma_f64 v[6:7], 0.5, v[30:31], v[10:11]
	v_fma_f64 v[32:33], -v[4:5], v[0:1], v[32:33]
	v_fma_f64 v[10:11], v[30:31], 0.5, -v[10:11]
	v_fmac_f64_e32 v[6:7], v[8:9], v[4:5]
	v_fma_f64 v[2:3], -v[4:5], v[0:1], v[2:3]
	v_fma_f64 v[0:1], -v[8:9], v[4:5], v[10:11]
	ds_write2_b64 v82, v[6:7], v[32:33] offset1:1
	ds_write_b128 v14, v[0:3] offset:21600
	ds_read_b128 v[0:3], v83 offset:2880
	ds_read_b128 v[4:7], v14 offset:20160
	global_load_dwordx4 v[8:11], v[28:29], off offset:3104
	s_waitcnt lgkmcnt(0)
	v_add_f64 v[28:29], v[0:1], v[4:5]
	v_add_f64 v[30:31], v[2:3], v[6:7]
	v_add_f64 v[0:1], v[0:1], -v[4:5]
	v_add_f64 v[2:3], v[2:3], -v[6:7]
	v_mul_f64 v[4:5], v[30:31], 0.5
	v_mul_f64 v[0:1], v[0:1], 0.5
	v_mul_f64 v[2:3], v[2:3], 0.5
	s_waitcnt vmcnt(3)
	v_mul_f64 v[6:7], v[0:1], v[18:19]
	v_fma_f64 v[30:31], v[4:5], v[18:19], v[2:3]
	v_fma_f64 v[2:3], v[4:5], v[18:19], -v[2:3]
	v_fma_f64 v[18:19], 0.5, v[28:29], v[6:7]
	v_fma_f64 v[30:31], -v[16:17], v[0:1], v[30:31]
	v_fma_f64 v[6:7], v[28:29], 0.5, -v[6:7]
	v_fma_f64 v[0:1], -v[16:17], v[0:1], v[2:3]
	v_fmac_f64_e32 v[18:19], v[4:5], v[16:17]
	ds_write_b64 v83, v[30:31] offset:2888
	v_fma_f64 v[2:3], -v[4:5], v[16:17], v[6:7]
	ds_write_b64 v14, v[0:1] offset:20168
	ds_write_b64 v83, v[18:19] offset:2880
	ds_write_b64 v14, v[2:3] offset:20160
	ds_read_b128 v[0:3], v83 offset:4320
	ds_read_b128 v[4:7], v14 offset:18720
	global_load_dwordx4 v[16:19], v[12:13], off offset:448
	s_waitcnt lgkmcnt(0)
	v_add_f64 v[28:29], v[0:1], v[4:5]
	v_add_f64 v[30:31], v[2:3], v[6:7]
	v_add_f64 v[0:1], v[0:1], -v[4:5]
	v_add_f64 v[2:3], v[2:3], -v[6:7]
	v_mul_f64 v[4:5], v[30:31], 0.5
	v_mul_f64 v[0:1], v[0:1], 0.5
	v_mul_f64 v[2:3], v[2:3], 0.5
	s_waitcnt vmcnt(3)
	v_mul_f64 v[6:7], v[0:1], v[22:23]
	v_fma_f64 v[30:31], v[4:5], v[22:23], v[2:3]
	v_fma_f64 v[2:3], v[4:5], v[22:23], -v[2:3]
	v_fma_f64 v[22:23], 0.5, v[28:29], v[6:7]
	v_fma_f64 v[30:31], -v[20:21], v[0:1], v[30:31]
	v_fma_f64 v[6:7], v[28:29], 0.5, -v[6:7]
	v_fma_f64 v[0:1], -v[20:21], v[0:1], v[2:3]
	v_fmac_f64_e32 v[22:23], v[4:5], v[20:21]
	ds_write_b64 v83, v[30:31] offset:4328
	v_fma_f64 v[2:3], -v[4:5], v[20:21], v[6:7]
	ds_write_b64 v14, v[0:1] offset:18728
	ds_write_b64 v83, v[22:23] offset:4320
	ds_write_b64 v14, v[2:3] offset:18720
	ds_read_b128 v[0:3], v83 offset:5760
	ds_read_b128 v[4:7], v14 offset:17280
	global_load_dwordx4 v[20:23], v[12:13], off offset:1888
	s_waitcnt lgkmcnt(0)
	v_add_f64 v[12:13], v[0:1], v[4:5]
	v_add_f64 v[28:29], v[2:3], v[6:7]
	v_add_f64 v[0:1], v[0:1], -v[4:5]
	v_add_f64 v[2:3], v[2:3], -v[6:7]
	v_mul_f64 v[4:5], v[28:29], 0.5
	v_mul_f64 v[0:1], v[0:1], 0.5
	v_mul_f64 v[2:3], v[2:3], 0.5
	s_waitcnt vmcnt(3)
	v_mul_f64 v[6:7], v[0:1], v[26:27]
	v_fma_f64 v[28:29], v[4:5], v[26:27], v[2:3]
	v_fma_f64 v[2:3], v[4:5], v[26:27], -v[2:3]
	v_fma_f64 v[26:27], 0.5, v[12:13], v[6:7]
	v_fma_f64 v[28:29], -v[24:25], v[0:1], v[28:29]
	v_fma_f64 v[6:7], v[12:13], 0.5, -v[6:7]
	v_fma_f64 v[0:1], -v[24:25], v[0:1], v[2:3]
	v_fmac_f64_e32 v[26:27], v[4:5], v[24:25]
	ds_write_b64 v83, v[28:29] offset:5768
	v_fma_f64 v[2:3], -v[4:5], v[24:25], v[6:7]
	ds_write_b64 v14, v[0:1] offset:17288
	ds_write_b64 v83, v[26:27] offset:5760
	ds_write_b64 v14, v[2:3] offset:17280
	ds_read_b128 v[0:3], v83 offset:7200
	ds_read_b128 v[4:7], v14 offset:15840
	s_waitcnt lgkmcnt(0)
	v_add_f64 v[12:13], v[0:1], v[4:5]
	v_add_f64 v[24:25], v[2:3], v[6:7]
	v_add_f64 v[0:1], v[0:1], -v[4:5]
	v_add_f64 v[2:3], v[2:3], -v[6:7]
	v_mul_f64 v[4:5], v[24:25], 0.5
	v_mul_f64 v[0:1], v[0:1], 0.5
	;; [unrolled: 1-line block ×3, first 2 shown]
	s_waitcnt vmcnt(2)
	v_mul_f64 v[6:7], v[0:1], v[10:11]
	v_fma_f64 v[24:25], v[4:5], v[10:11], v[2:3]
	v_fma_f64 v[2:3], v[4:5], v[10:11], -v[2:3]
	v_fma_f64 v[10:11], 0.5, v[12:13], v[6:7]
	v_fma_f64 v[24:25], -v[8:9], v[0:1], v[24:25]
	v_fma_f64 v[6:7], v[12:13], 0.5, -v[6:7]
	v_fma_f64 v[0:1], -v[8:9], v[0:1], v[2:3]
	v_fmac_f64_e32 v[10:11], v[4:5], v[8:9]
	ds_write_b64 v83, v[24:25] offset:7208
	v_fma_f64 v[2:3], -v[4:5], v[8:9], v[6:7]
	ds_write_b64 v14, v[0:1] offset:15848
	ds_write_b64 v83, v[10:11] offset:7200
	;; [unrolled: 1-line block ×3, first 2 shown]
	ds_read_b128 v[0:3], v120 offset:8640
	ds_read_b128 v[4:7], v14 offset:14400
	s_waitcnt lgkmcnt(0)
	v_add_f64 v[8:9], v[0:1], v[4:5]
	v_add_f64 v[0:1], v[0:1], -v[4:5]
	v_add_f64 v[10:11], v[2:3], v[6:7]
	v_add_f64 v[2:3], v[2:3], -v[6:7]
	v_mul_f64 v[6:7], v[0:1], 0.5
	v_mul_f64 v[4:5], v[10:11], 0.5
	;; [unrolled: 1-line block ×3, first 2 shown]
	s_waitcnt vmcnt(1)
	v_mul_f64 v[0:1], v[6:7], v[18:19]
	v_fma_f64 v[10:11], 0.5, v[8:9], v[0:1]
	v_fma_f64 v[12:13], v[4:5], v[18:19], v[2:3]
	v_fmac_f64_e32 v[10:11], v[4:5], v[16:17]
	v_fma_f64 v[12:13], -v[16:17], v[6:7], v[12:13]
	v_fma_f64 v[0:1], v[8:9], 0.5, -v[0:1]
	v_fma_f64 v[2:3], v[4:5], v[18:19], -v[2:3]
	v_fma_f64 v[0:1], -v[4:5], v[16:17], v[0:1]
	v_fma_f64 v[2:3], -v[16:17], v[6:7], v[2:3]
	ds_write2_b64 v15, v[10:11], v[12:13] offset0:56 offset1:57
	ds_write_b128 v14, v[0:3] offset:14400
	ds_read_b128 v[0:3], v120 offset:10080
	ds_read_b128 v[4:7], v14 offset:12960
	s_waitcnt lgkmcnt(0)
	v_add_f64 v[8:9], v[0:1], v[4:5]
	v_add_f64 v[0:1], v[0:1], -v[4:5]
	v_add_f64 v[10:11], v[2:3], v[6:7]
	v_add_f64 v[2:3], v[2:3], -v[6:7]
	v_mul_f64 v[4:5], v[0:1], 0.5
	v_mul_f64 v[10:11], v[10:11], 0.5
	;; [unrolled: 1-line block ×3, first 2 shown]
	s_waitcnt vmcnt(0)
	v_mul_f64 v[0:1], v[4:5], v[22:23]
	v_fma_f64 v[6:7], 0.5, v[8:9], v[0:1]
	v_fma_f64 v[12:13], v[10:11], v[22:23], v[2:3]
	v_fmac_f64_e32 v[6:7], v[10:11], v[20:21]
	v_fma_f64 v[12:13], -v[20:21], v[4:5], v[12:13]
	v_fma_f64 v[0:1], v[8:9], 0.5, -v[0:1]
	v_fma_f64 v[2:3], v[10:11], v[22:23], -v[2:3]
	v_fma_f64 v[0:1], -v[10:11], v[20:21], v[0:1]
	v_fma_f64 v[2:3], -v[20:21], v[4:5], v[2:3]
	ds_write2_b64 v15, v[6:7], v[12:13] offset0:236 offset1:237
	ds_write_b128 v14, v[0:3] offset:12960
	s_waitcnt lgkmcnt(0)
	s_barrier
	s_and_saveexec_b64 s[2:3], s[0:1]
	s_cbranch_execz .LBB0_30
; %bb.28:
	v_mul_lo_u32 v2, s5, v76
	v_mul_lo_u32 v3, s4, v77
	v_mad_u64_u32 v[0:1], s[0:1], s4, v76, 0
	v_lshl_add_u32 v12, v74, 4, 0
	v_add3_u32 v1, v1, v3, v2
	ds_read_b128 v[2:5], v12
	ds_read_b128 v[6:9], v12 offset:1440
	v_lshl_add_u64 v[0:1], v[0:1], 4, s[6:7]
	v_mov_b32_e32 v75, v79
	v_lshl_add_u64 v[0:1], v[72:73], 4, v[0:1]
	v_lshl_add_u64 v[10:11], v[74:75], 4, v[0:1]
	v_add_u32_e32 v78, 0x5a, v74
	s_waitcnt lgkmcnt(1)
	global_store_dwordx4 v[10:11], v[2:5], off
	v_lshl_add_u64 v[10:11], v[78:79], 4, v[0:1]
	ds_read_b128 v[2:5], v12 offset:2880
	s_waitcnt lgkmcnt(1)
	global_store_dwordx4 v[10:11], v[6:9], off
	ds_read_b128 v[6:9], v12 offset:4320
	v_add_u32_e32 v78, 0xb4, v74
	v_lshl_add_u64 v[10:11], v[78:79], 4, v[0:1]
	v_add_u32_e32 v78, 0x10e, v74
	s_waitcnt lgkmcnt(1)
	global_store_dwordx4 v[10:11], v[2:5], off
	v_lshl_add_u64 v[10:11], v[78:79], 4, v[0:1]
	ds_read_b128 v[2:5], v12 offset:5760
	s_waitcnt lgkmcnt(1)
	global_store_dwordx4 v[10:11], v[6:9], off
	ds_read_b128 v[6:9], v12 offset:7200
	v_add_u32_e32 v78, 0x168, v74
	;; [unrolled: 10-line block ×7, first 2 shown]
	v_lshl_add_u64 v[10:11], v[78:79], 4, v[0:1]
	v_add_u32_e32 v78, 0x546, v74
	s_movk_i32 s0, 0x59
	s_waitcnt lgkmcnt(1)
	global_store_dwordx4 v[10:11], v[2:5], off
	v_cmp_eq_u32_e32 vcc, s0, v74
	s_nop 0
	v_lshl_add_u64 v[2:3], v[78:79], 4, v[0:1]
	s_waitcnt lgkmcnt(0)
	global_store_dwordx4 v[2:3], v[6:9], off
	s_and_b64 exec, exec, vcc
	s_cbranch_execz .LBB0_30
; %bb.29:
	v_mov_b32_e32 v2, 0
	ds_read_b128 v[2:5], v2 offset:23040
	v_add_co_u32_e32 v0, vcc, 0x5000, v0
	s_nop 1
	v_addc_co_u32_e32 v1, vcc, 0, v1, vcc
	s_waitcnt lgkmcnt(0)
	global_store_dwordx4 v[0:1], v[2:5], off offset:2560
.LBB0_30:
	s_endpgm
	.section	.rodata,"a",@progbits
	.p2align	6, 0x0
	.amdhsa_kernel fft_rtc_back_len1440_factors_10_16_3_3_wgs_90_tpt_90_halfLds_dp_op_CI_CI_unitstride_sbrr_R2C_dirReg
		.amdhsa_group_segment_fixed_size 0
		.amdhsa_private_segment_fixed_size 0
		.amdhsa_kernarg_size 104
		.amdhsa_user_sgpr_count 2
		.amdhsa_user_sgpr_dispatch_ptr 0
		.amdhsa_user_sgpr_queue_ptr 0
		.amdhsa_user_sgpr_kernarg_segment_ptr 1
		.amdhsa_user_sgpr_dispatch_id 0
		.amdhsa_user_sgpr_kernarg_preload_length 0
		.amdhsa_user_sgpr_kernarg_preload_offset 0
		.amdhsa_user_sgpr_private_segment_size 0
		.amdhsa_uses_dynamic_stack 0
		.amdhsa_enable_private_segment 0
		.amdhsa_system_sgpr_workgroup_id_x 1
		.amdhsa_system_sgpr_workgroup_id_y 0
		.amdhsa_system_sgpr_workgroup_id_z 0
		.amdhsa_system_sgpr_workgroup_info 0
		.amdhsa_system_vgpr_workitem_id 0
		.amdhsa_next_free_vgpr 162
		.amdhsa_next_free_sgpr 28
		.amdhsa_accum_offset 164
		.amdhsa_reserve_vcc 1
		.amdhsa_float_round_mode_32 0
		.amdhsa_float_round_mode_16_64 0
		.amdhsa_float_denorm_mode_32 3
		.amdhsa_float_denorm_mode_16_64 3
		.amdhsa_dx10_clamp 1
		.amdhsa_ieee_mode 1
		.amdhsa_fp16_overflow 0
		.amdhsa_tg_split 0
		.amdhsa_exception_fp_ieee_invalid_op 0
		.amdhsa_exception_fp_denorm_src 0
		.amdhsa_exception_fp_ieee_div_zero 0
		.amdhsa_exception_fp_ieee_overflow 0
		.amdhsa_exception_fp_ieee_underflow 0
		.amdhsa_exception_fp_ieee_inexact 0
		.amdhsa_exception_int_div_zero 0
	.end_amdhsa_kernel
	.text
.Lfunc_end0:
	.size	fft_rtc_back_len1440_factors_10_16_3_3_wgs_90_tpt_90_halfLds_dp_op_CI_CI_unitstride_sbrr_R2C_dirReg, .Lfunc_end0-fft_rtc_back_len1440_factors_10_16_3_3_wgs_90_tpt_90_halfLds_dp_op_CI_CI_unitstride_sbrr_R2C_dirReg
                                        ; -- End function
	.section	.AMDGPU.csdata,"",@progbits
; Kernel info:
; codeLenInByte = 12384
; NumSgprs: 34
; NumVgprs: 162
; NumAgprs: 0
; TotalNumVgprs: 162
; ScratchSize: 0
; MemoryBound: 0
; FloatMode: 240
; IeeeMode: 1
; LDSByteSize: 0 bytes/workgroup (compile time only)
; SGPRBlocks: 4
; VGPRBlocks: 20
; NumSGPRsForWavesPerEU: 34
; NumVGPRsForWavesPerEU: 162
; AccumOffset: 164
; Occupancy: 3
; WaveLimiterHint : 1
; COMPUTE_PGM_RSRC2:SCRATCH_EN: 0
; COMPUTE_PGM_RSRC2:USER_SGPR: 2
; COMPUTE_PGM_RSRC2:TRAP_HANDLER: 0
; COMPUTE_PGM_RSRC2:TGID_X_EN: 1
; COMPUTE_PGM_RSRC2:TGID_Y_EN: 0
; COMPUTE_PGM_RSRC2:TGID_Z_EN: 0
; COMPUTE_PGM_RSRC2:TIDIG_COMP_CNT: 0
; COMPUTE_PGM_RSRC3_GFX90A:ACCUM_OFFSET: 40
; COMPUTE_PGM_RSRC3_GFX90A:TG_SPLIT: 0
	.text
	.p2alignl 6, 3212836864
	.fill 256, 4, 3212836864
	.type	__hip_cuid_ee97eec4cc7f7a5a,@object ; @__hip_cuid_ee97eec4cc7f7a5a
	.section	.bss,"aw",@nobits
	.globl	__hip_cuid_ee97eec4cc7f7a5a
__hip_cuid_ee97eec4cc7f7a5a:
	.byte	0                               ; 0x0
	.size	__hip_cuid_ee97eec4cc7f7a5a, 1

	.ident	"AMD clang version 19.0.0git (https://github.com/RadeonOpenCompute/llvm-project roc-6.4.0 25133 c7fe45cf4b819c5991fe208aaa96edf142730f1d)"
	.section	".note.GNU-stack","",@progbits
	.addrsig
	.addrsig_sym __hip_cuid_ee97eec4cc7f7a5a
	.amdgpu_metadata
---
amdhsa.kernels:
  - .agpr_count:     0
    .args:
      - .actual_access:  read_only
        .address_space:  global
        .offset:         0
        .size:           8
        .value_kind:     global_buffer
      - .offset:         8
        .size:           8
        .value_kind:     by_value
      - .actual_access:  read_only
        .address_space:  global
        .offset:         16
        .size:           8
        .value_kind:     global_buffer
      - .actual_access:  read_only
        .address_space:  global
        .offset:         24
        .size:           8
        .value_kind:     global_buffer
      - .actual_access:  read_only
        .address_space:  global
        .offset:         32
        .size:           8
        .value_kind:     global_buffer
      - .offset:         40
        .size:           8
        .value_kind:     by_value
      - .actual_access:  read_only
        .address_space:  global
        .offset:         48
        .size:           8
        .value_kind:     global_buffer
      - .actual_access:  read_only
        .address_space:  global
        .offset:         56
        .size:           8
        .value_kind:     global_buffer
      - .offset:         64
        .size:           4
        .value_kind:     by_value
      - .actual_access:  read_only
        .address_space:  global
        .offset:         72
        .size:           8
        .value_kind:     global_buffer
      - .actual_access:  read_only
        .address_space:  global
        .offset:         80
        .size:           8
        .value_kind:     global_buffer
      - .actual_access:  read_only
        .address_space:  global
        .offset:         88
        .size:           8
        .value_kind:     global_buffer
      - .actual_access:  write_only
        .address_space:  global
        .offset:         96
        .size:           8
        .value_kind:     global_buffer
    .group_segment_fixed_size: 0
    .kernarg_segment_align: 8
    .kernarg_segment_size: 104
    .language:       OpenCL C
    .language_version:
      - 2
      - 0
    .max_flat_workgroup_size: 90
    .name:           fft_rtc_back_len1440_factors_10_16_3_3_wgs_90_tpt_90_halfLds_dp_op_CI_CI_unitstride_sbrr_R2C_dirReg
    .private_segment_fixed_size: 0
    .sgpr_count:     34
    .sgpr_spill_count: 0
    .symbol:         fft_rtc_back_len1440_factors_10_16_3_3_wgs_90_tpt_90_halfLds_dp_op_CI_CI_unitstride_sbrr_R2C_dirReg.kd
    .uniform_work_group_size: 1
    .uses_dynamic_stack: false
    .vgpr_count:     162
    .vgpr_spill_count: 0
    .wavefront_size: 64
amdhsa.target:   amdgcn-amd-amdhsa--gfx950
amdhsa.version:
  - 1
  - 2
...

	.end_amdgpu_metadata
